;; amdgpu-corpus repo=ROCm/rocFFT kind=compiled arch=gfx1201 opt=O3
	.text
	.amdgcn_target "amdgcn-amd-amdhsa--gfx1201"
	.amdhsa_code_object_version 6
	.protected	fft_rtc_fwd_len480_factors_10_8_6_wgs_64_tpt_16_halfLds_dp_op_CI_CI_sbrr_dirReg ; -- Begin function fft_rtc_fwd_len480_factors_10_8_6_wgs_64_tpt_16_halfLds_dp_op_CI_CI_sbrr_dirReg
	.globl	fft_rtc_fwd_len480_factors_10_8_6_wgs_64_tpt_16_halfLds_dp_op_CI_CI_sbrr_dirReg
	.p2align	8
	.type	fft_rtc_fwd_len480_factors_10_8_6_wgs_64_tpt_16_halfLds_dp_op_CI_CI_sbrr_dirReg,@function
fft_rtc_fwd_len480_factors_10_8_6_wgs_64_tpt_16_halfLds_dp_op_CI_CI_sbrr_dirReg: ; @fft_rtc_fwd_len480_factors_10_8_6_wgs_64_tpt_16_halfLds_dp_op_CI_CI_sbrr_dirReg
; %bb.0:
	s_clause 0x2
	s_load_b128 s[12:15], s[0:1], 0x18
	s_load_b128 s[8:11], s[0:1], 0x0
	;; [unrolled: 1-line block ×3, first 2 shown]
	v_lshrrev_b32_e32 v40, 4, v0
	v_dual_mov_b32 v1, 0 :: v_dual_mov_b32 v4, 0
	v_mov_b32_e32 v5, 0
	s_wait_kmcnt 0x0
	s_load_b64 s[18:19], s[12:13], 0x0
	s_load_b64 s[16:17], s[14:15], 0x0
	v_cmp_lt_u64_e64 s2, s[10:11], 2
	v_lshl_or_b32 v6, ttmp9, 2, v40
	v_mov_b32_e32 v7, v1
	s_delay_alu instid0(VALU_DEP_3)
	s_and_b32 vcc_lo, exec_lo, s2
	s_cbranch_vccnz .LBB0_8
; %bb.1:
	s_load_b64 s[2:3], s[0:1], 0x10
	v_mov_b32_e32 v4, 0
	v_mov_b32_e32 v5, 0
	s_add_nc_u64 s[20:21], s[14:15], 8
	s_add_nc_u64 s[22:23], s[12:13], 8
	s_mov_b64 s[24:25], 1
	s_delay_alu instid0(VALU_DEP_1)
	v_dual_mov_b32 v179, v5 :: v_dual_mov_b32 v178, v4
	s_wait_kmcnt 0x0
	s_add_nc_u64 s[26:27], s[2:3], 8
	s_mov_b32 s3, 0
.LBB0_2:                                ; =>This Inner Loop Header: Depth=1
	s_load_b64 s[28:29], s[26:27], 0x0
                                        ; implicit-def: $vgpr174_vgpr175
	s_mov_b32 s2, exec_lo
	s_wait_kmcnt 0x0
	v_or_b32_e32 v2, s29, v7
	s_delay_alu instid0(VALU_DEP_1)
	v_cmpx_ne_u64_e32 0, v[1:2]
	s_wait_alu 0xfffe
	s_xor_b32 s30, exec_lo, s2
	s_cbranch_execz .LBB0_4
; %bb.3:                                ;   in Loop: Header=BB0_2 Depth=1
	s_cvt_f32_u32 s2, s28
	s_cvt_f32_u32 s31, s29
	s_sub_nc_u64 s[36:37], 0, s[28:29]
	s_wait_alu 0xfffe
	s_delay_alu instid0(SALU_CYCLE_1) | instskip(SKIP_1) | instid1(SALU_CYCLE_2)
	s_fmamk_f32 s2, s31, 0x4f800000, s2
	s_wait_alu 0xfffe
	v_s_rcp_f32 s2, s2
	s_delay_alu instid0(TRANS32_DEP_1) | instskip(SKIP_1) | instid1(SALU_CYCLE_2)
	s_mul_f32 s2, s2, 0x5f7ffffc
	s_wait_alu 0xfffe
	s_mul_f32 s31, s2, 0x2f800000
	s_wait_alu 0xfffe
	s_delay_alu instid0(SALU_CYCLE_2) | instskip(SKIP_1) | instid1(SALU_CYCLE_2)
	s_trunc_f32 s31, s31
	s_wait_alu 0xfffe
	s_fmamk_f32 s2, s31, 0xcf800000, s2
	s_cvt_u32_f32 s35, s31
	s_wait_alu 0xfffe
	s_delay_alu instid0(SALU_CYCLE_1) | instskip(SKIP_1) | instid1(SALU_CYCLE_2)
	s_cvt_u32_f32 s34, s2
	s_wait_alu 0xfffe
	s_mul_u64 s[38:39], s[36:37], s[34:35]
	s_wait_alu 0xfffe
	s_mul_hi_u32 s41, s34, s39
	s_mul_i32 s40, s34, s39
	s_mul_hi_u32 s2, s34, s38
	s_mul_i32 s33, s35, s38
	s_wait_alu 0xfffe
	s_add_nc_u64 s[40:41], s[2:3], s[40:41]
	s_mul_hi_u32 s31, s35, s38
	s_mul_hi_u32 s42, s35, s39
	s_add_co_u32 s2, s40, s33
	s_wait_alu 0xfffe
	s_add_co_ci_u32 s2, s41, s31
	s_mul_i32 s38, s35, s39
	s_add_co_ci_u32 s39, s42, 0
	s_wait_alu 0xfffe
	s_add_nc_u64 s[38:39], s[2:3], s[38:39]
	s_wait_alu 0xfffe
	v_add_co_u32 v2, s2, s34, s38
	s_delay_alu instid0(VALU_DEP_1) | instskip(SKIP_1) | instid1(VALU_DEP_1)
	s_cmp_lg_u32 s2, 0
	s_add_co_ci_u32 s35, s35, s39
	v_readfirstlane_b32 s34, v2
	s_wait_alu 0xfffe
	s_delay_alu instid0(VALU_DEP_1)
	s_mul_u64 s[36:37], s[36:37], s[34:35]
	s_wait_alu 0xfffe
	s_mul_hi_u32 s39, s34, s37
	s_mul_i32 s38, s34, s37
	s_mul_hi_u32 s2, s34, s36
	s_mul_i32 s33, s35, s36
	s_wait_alu 0xfffe
	s_add_nc_u64 s[38:39], s[2:3], s[38:39]
	s_mul_hi_u32 s31, s35, s36
	s_mul_hi_u32 s34, s35, s37
	s_wait_alu 0xfffe
	s_add_co_u32 s2, s38, s33
	s_add_co_ci_u32 s2, s39, s31
	s_mul_i32 s36, s35, s37
	s_add_co_ci_u32 s37, s34, 0
	s_wait_alu 0xfffe
	s_add_nc_u64 s[36:37], s[2:3], s[36:37]
	s_wait_alu 0xfffe
	v_add_co_u32 v8, s2, v2, s36
	s_delay_alu instid0(VALU_DEP_1) | instskip(SKIP_1) | instid1(VALU_DEP_1)
	s_cmp_lg_u32 s2, 0
	s_add_co_ci_u32 s2, s35, s37
	v_mul_hi_u32 v12, v6, v8
	s_wait_alu 0xfffe
	v_mad_co_u64_u32 v[2:3], null, v6, s2, 0
	v_mad_co_u64_u32 v[8:9], null, v7, v8, 0
	;; [unrolled: 1-line block ×3, first 2 shown]
	s_delay_alu instid0(VALU_DEP_3) | instskip(SKIP_1) | instid1(VALU_DEP_4)
	v_add_co_u32 v2, vcc_lo, v12, v2
	s_wait_alu 0xfffd
	v_add_co_ci_u32_e32 v3, vcc_lo, 0, v3, vcc_lo
	s_delay_alu instid0(VALU_DEP_2) | instskip(SKIP_1) | instid1(VALU_DEP_2)
	v_add_co_u32 v2, vcc_lo, v2, v8
	s_wait_alu 0xfffd
	v_add_co_ci_u32_e32 v2, vcc_lo, v3, v9, vcc_lo
	s_wait_alu 0xfffd
	v_add_co_ci_u32_e32 v3, vcc_lo, 0, v11, vcc_lo
	s_delay_alu instid0(VALU_DEP_2) | instskip(SKIP_1) | instid1(VALU_DEP_2)
	v_add_co_u32 v8, vcc_lo, v2, v10
	s_wait_alu 0xfffd
	v_add_co_ci_u32_e32 v9, vcc_lo, 0, v3, vcc_lo
	s_delay_alu instid0(VALU_DEP_2) | instskip(SKIP_1) | instid1(VALU_DEP_3)
	v_mul_lo_u32 v10, s29, v8
	v_mad_co_u64_u32 v[2:3], null, s28, v8, 0
	v_mul_lo_u32 v11, s28, v9
	s_delay_alu instid0(VALU_DEP_2) | instskip(NEXT) | instid1(VALU_DEP_2)
	v_sub_co_u32 v2, vcc_lo, v6, v2
	v_add3_u32 v3, v3, v11, v10
	s_delay_alu instid0(VALU_DEP_1) | instskip(SKIP_1) | instid1(VALU_DEP_1)
	v_sub_nc_u32_e32 v10, v7, v3
	s_wait_alu 0xfffd
	v_subrev_co_ci_u32_e64 v10, s2, s29, v10, vcc_lo
	v_add_co_u32 v11, s2, v8, 2
	s_wait_alu 0xf1ff
	v_add_co_ci_u32_e64 v12, s2, 0, v9, s2
	v_sub_co_u32 v13, s2, v2, s28
	v_sub_co_ci_u32_e32 v3, vcc_lo, v7, v3, vcc_lo
	s_wait_alu 0xf1ff
	v_subrev_co_ci_u32_e64 v10, s2, 0, v10, s2
	s_delay_alu instid0(VALU_DEP_3) | instskip(NEXT) | instid1(VALU_DEP_3)
	v_cmp_le_u32_e32 vcc_lo, s28, v13
	v_cmp_eq_u32_e64 s2, s29, v3
	s_wait_alu 0xfffd
	v_cndmask_b32_e64 v13, 0, -1, vcc_lo
	v_cmp_le_u32_e32 vcc_lo, s29, v10
	s_wait_alu 0xfffd
	v_cndmask_b32_e64 v14, 0, -1, vcc_lo
	v_cmp_le_u32_e32 vcc_lo, s28, v2
	;; [unrolled: 3-line block ×3, first 2 shown]
	s_wait_alu 0xfffd
	v_cndmask_b32_e64 v15, 0, -1, vcc_lo
	v_cmp_eq_u32_e32 vcc_lo, s29, v10
	s_wait_alu 0xf1ff
	s_delay_alu instid0(VALU_DEP_2)
	v_cndmask_b32_e64 v2, v15, v2, s2
	s_wait_alu 0xfffd
	v_cndmask_b32_e32 v10, v14, v13, vcc_lo
	v_add_co_u32 v13, vcc_lo, v8, 1
	s_wait_alu 0xfffd
	v_add_co_ci_u32_e32 v14, vcc_lo, 0, v9, vcc_lo
	s_delay_alu instid0(VALU_DEP_3) | instskip(SKIP_1) | instid1(VALU_DEP_2)
	v_cmp_ne_u32_e32 vcc_lo, 0, v10
	s_wait_alu 0xfffd
	v_dual_cndmask_b32 v3, v14, v12 :: v_dual_cndmask_b32 v10, v13, v11
	v_cmp_ne_u32_e32 vcc_lo, 0, v2
	s_wait_alu 0xfffd
	s_delay_alu instid0(VALU_DEP_2)
	v_dual_cndmask_b32 v175, v9, v3 :: v_dual_cndmask_b32 v174, v8, v10
.LBB0_4:                                ;   in Loop: Header=BB0_2 Depth=1
	s_wait_alu 0xfffe
	s_and_not1_saveexec_b32 s2, s30
	s_cbranch_execz .LBB0_6
; %bb.5:                                ;   in Loop: Header=BB0_2 Depth=1
	v_cvt_f32_u32_e32 v2, s28
	s_sub_co_i32 s30, 0, s28
	v_mov_b32_e32 v175, v1
	s_delay_alu instid0(VALU_DEP_2) | instskip(NEXT) | instid1(TRANS32_DEP_1)
	v_rcp_iflag_f32_e32 v2, v2
	v_mul_f32_e32 v2, 0x4f7ffffe, v2
	s_delay_alu instid0(VALU_DEP_1) | instskip(SKIP_1) | instid1(VALU_DEP_1)
	v_cvt_u32_f32_e32 v2, v2
	s_wait_alu 0xfffe
	v_mul_lo_u32 v3, s30, v2
	s_delay_alu instid0(VALU_DEP_1) | instskip(NEXT) | instid1(VALU_DEP_1)
	v_mul_hi_u32 v3, v2, v3
	v_add_nc_u32_e32 v2, v2, v3
	s_delay_alu instid0(VALU_DEP_1) | instskip(NEXT) | instid1(VALU_DEP_1)
	v_mul_hi_u32 v2, v6, v2
	v_mul_lo_u32 v3, v2, s28
	v_add_nc_u32_e32 v8, 1, v2
	s_delay_alu instid0(VALU_DEP_2) | instskip(NEXT) | instid1(VALU_DEP_1)
	v_sub_nc_u32_e32 v3, v6, v3
	v_subrev_nc_u32_e32 v9, s28, v3
	v_cmp_le_u32_e32 vcc_lo, s28, v3
	s_wait_alu 0xfffd
	s_delay_alu instid0(VALU_DEP_2) | instskip(NEXT) | instid1(VALU_DEP_1)
	v_dual_cndmask_b32 v3, v3, v9 :: v_dual_cndmask_b32 v2, v2, v8
	v_cmp_le_u32_e32 vcc_lo, s28, v3
	s_delay_alu instid0(VALU_DEP_2) | instskip(SKIP_1) | instid1(VALU_DEP_1)
	v_add_nc_u32_e32 v8, 1, v2
	s_wait_alu 0xfffd
	v_cndmask_b32_e32 v174, v2, v8, vcc_lo
.LBB0_6:                                ;   in Loop: Header=BB0_2 Depth=1
	s_wait_alu 0xfffe
	s_or_b32 exec_lo, exec_lo, s2
	v_mul_lo_u32 v8, v175, s28
	s_delay_alu instid0(VALU_DEP_2)
	v_mul_lo_u32 v9, v174, s29
	s_load_b64 s[30:31], s[22:23], 0x0
	v_mad_co_u64_u32 v[2:3], null, v174, s28, 0
	s_load_b64 s[28:29], s[20:21], 0x0
	s_add_nc_u64 s[24:25], s[24:25], 1
	s_add_nc_u64 s[20:21], s[20:21], 8
	s_wait_alu 0xfffe
	v_cmp_ge_u64_e64 s2, s[24:25], s[10:11]
	s_add_nc_u64 s[22:23], s[22:23], 8
	s_add_nc_u64 s[26:27], s[26:27], 8
	v_add3_u32 v3, v3, v9, v8
	v_sub_co_u32 v2, vcc_lo, v6, v2
	s_wait_alu 0xfffd
	s_delay_alu instid0(VALU_DEP_2) | instskip(SKIP_2) | instid1(VALU_DEP_1)
	v_sub_co_ci_u32_e32 v3, vcc_lo, v7, v3, vcc_lo
	s_and_b32 vcc_lo, exec_lo, s2
	s_wait_kmcnt 0x0
	v_mul_lo_u32 v6, s30, v3
	v_mul_lo_u32 v7, s31, v2
	v_mad_co_u64_u32 v[4:5], null, s30, v2, v[4:5]
	v_mul_lo_u32 v3, s28, v3
	v_mul_lo_u32 v8, s29, v2
	v_mad_co_u64_u32 v[178:179], null, s28, v2, v[178:179]
	s_delay_alu instid0(VALU_DEP_4) | instskip(NEXT) | instid1(VALU_DEP_2)
	v_add3_u32 v5, v7, v5, v6
	v_add3_u32 v179, v8, v179, v3
	s_wait_alu 0xfffe
	s_cbranch_vccnz .LBB0_9
; %bb.7:                                ;   in Loop: Header=BB0_2 Depth=1
	v_dual_mov_b32 v6, v174 :: v_dual_mov_b32 v7, v175
	s_branch .LBB0_2
.LBB0_8:
	v_dual_mov_b32 v179, v5 :: v_dual_mov_b32 v178, v4
	s_delay_alu instid0(VALU_DEP_2)
	v_dual_mov_b32 v175, v7 :: v_dual_mov_b32 v174, v6
.LBB0_9:
	s_load_b64 s[0:1], s[0:1], 0x28
	v_and_b32_e32 v204, 15, v0
	s_lshl_b64 s[10:11], s[10:11], 3
                                        ; implicit-def: $vgpr206
                                        ; implicit-def: $vgpr207
                                        ; implicit-def: $vgpr205
	s_wait_kmcnt 0x0
	v_cmp_gt_u64_e32 vcc_lo, s[0:1], v[174:175]
	v_cmp_le_u64_e64 s0, s[0:1], v[174:175]
	s_delay_alu instid0(VALU_DEP_1)
	s_and_saveexec_b32 s1, s0
	s_wait_alu 0xfffe
	s_xor_b32 s0, exec_lo, s1
; %bb.10:
	v_and_b32_e32 v204, 15, v0
                                        ; implicit-def: $vgpr4_vgpr5
	s_delay_alu instid0(VALU_DEP_1)
	v_or_b32_e32 v206, 16, v204
	v_or_b32_e32 v207, 32, v204
	;; [unrolled: 1-line block ×3, first 2 shown]
; %bb.11:
	s_wait_alu 0xfffe
	s_or_saveexec_b32 s1, s0
	s_add_nc_u64 s[2:3], s[14:15], s[10:11]
                                        ; implicit-def: $vgpr2_vgpr3
                                        ; implicit-def: $vgpr10_vgpr11
                                        ; implicit-def: $vgpr26_vgpr27
                                        ; implicit-def: $vgpr18_vgpr19
                                        ; implicit-def: $vgpr52_vgpr53
                                        ; implicit-def: $vgpr126_vgpr127
                                        ; implicit-def: $vgpr92_vgpr93
                                        ; implicit-def: $vgpr96_vgpr97
                                        ; implicit-def: $vgpr76_vgpr77
                                        ; implicit-def: $vgpr60_vgpr61
                                        ; implicit-def: $vgpr116_vgpr117
                                        ; implicit-def: $vgpr100_vgpr101
                                        ; implicit-def: $vgpr108_vgpr109
                                        ; implicit-def: $vgpr84_vgpr85
                                        ; implicit-def: $vgpr68_vgpr69
                                        ; implicit-def: $vgpr72_vgpr73
                                        ; implicit-def: $vgpr88_vgpr89
                                        ; implicit-def: $vgpr104_vgpr105
                                        ; implicit-def: $vgpr134_vgpr135
                                        ; implicit-def: $vgpr130_vgpr131
                                        ; implicit-def: $vgpr64_vgpr65
                                        ; implicit-def: $vgpr80_vgpr81
                                        ; implicit-def: $vgpr112_vgpr113
                                        ; implicit-def: $vgpr138_vgpr139
                                        ; implicit-def: $vgpr122_vgpr123
                                        ; implicit-def: $vgpr56_vgpr57
                                        ; implicit-def: $vgpr22_vgpr23
                                        ; implicit-def: $vgpr30_vgpr31
                                        ; implicit-def: $vgpr6_vgpr7
                                        ; implicit-def: $vgpr14_vgpr15
	s_wait_alu 0xfffe
	s_xor_b32 exec_lo, exec_lo, s1
	s_cbranch_execz .LBB0_13
; %bb.12:
	v_or_b32_e32 v24, 0x120, v204
	v_or_b32_e32 v26, 0x150, v204
	;; [unrolled: 1-line block ×5, first 2 shown]
	v_mad_co_u64_u32 v[20:21], null, s18, v24, 0
	v_mad_co_u64_u32 v[22:23], null, s18, v26, 0
	v_mad_co_u64_u32 v[0:1], null, s18, v204, 0
	v_mad_co_u64_u32 v[6:7], null, s18, v15, 0
	v_mad_co_u64_u32 v[8:9], null, s18, v16, 0
	s_delay_alu instid0(VALU_DEP_4)
	v_mad_co_u64_u32 v[24:25], null, s19, v24, v[21:22]
	v_mad_co_u64_u32 v[34:35], null, s18, v27, 0
	v_lshlrev_b64_e32 v[2:3], 4, v[4:5]
	v_or_b32_e32 v64, 0x1c0, v204
	v_or_b32_e32 v206, 16, v204
	;; [unrolled: 1-line block ×3, first 2 shown]
	v_mad_co_u64_u32 v[25:26], null, s19, v26, v[23:24]
	v_or_b32_e32 v26, 0x1b0, v204
	v_mad_co_u64_u32 v[12:13], null, s19, v204, v[1:2]
	v_mov_b32_e32 v1, v7
	v_mov_b32_e32 v7, v9
	s_delay_alu instid0(VALU_DEP_4)
	v_mad_co_u64_u32 v[36:37], null, s18, v26, 0
	v_mad_co_u64_u32 v[60:61], null, s18, v64, 0
	v_dual_mov_b32 v21, v24 :: v_dual_mov_b32 v24, v35
	v_mad_co_u64_u32 v[38:39], null, s18, v206, 0
	v_mov_b32_e32 v23, v25
	v_or_b32_e32 v47, 0x70, v204
	s_delay_alu instid0(VALU_DEP_4) | instskip(SKIP_4) | instid1(VALU_DEP_4)
	v_mad_co_u64_u32 v[24:25], null, s19, v27, v[24:25]
	v_mov_b32_e32 v25, v37
	v_or_b32_e32 v205, 48, v204
	v_mad_co_u64_u32 v[43:44], null, s19, v206, v[39:40]
	v_or_b32_e32 v49, 0xa0, v204
	v_mad_co_u64_u32 v[41:42], null, s19, v26, v[25:26]
	s_delay_alu instid0(VALU_DEP_4) | instskip(SKIP_1) | instid1(VALU_DEP_4)
	v_mad_co_u64_u32 v[4:5], null, s18, v205, 0
	s_add_nc_u64 s[10:11], s[12:13], s[10:11]
	v_mov_b32_e32 v39, v43
	v_mad_co_u64_u32 v[43:44], null, s18, v47, 0
	s_delay_alu instid0(VALU_DEP_4)
	v_mov_b32_e32 v37, v41
	v_mad_co_u64_u32 v[41:42], null, s18, v45, 0
	s_load_b64 s[10:11], s[10:11], 0x0
	v_mad_co_u64_u32 v[13:14], null, s19, v205, v[5:6]
	v_mad_co_u64_u32 v[14:15], null, s19, v15, v[1:2]
	v_or_b32_e32 v51, 0xd0, v204
	s_delay_alu instid0(VALU_DEP_4)
	v_mad_co_u64_u32 v[45:46], null, s19, v45, v[42:43]
	v_mov_b32_e32 v1, v12
	v_or_b32_e32 v53, 0x100, v204
	v_or_b32_e32 v55, 0x130, v204
	;; [unrolled: 1-line block ×5, first 2 shown]
	v_mov_b32_e32 v42, v45
	v_mad_co_u64_u32 v[45:46], null, s18, v49, 0
	v_lshlrev_b64_e32 v[0:1], 4, v[0:1]
	v_lshlrev_b64_e32 v[20:21], 4, v[20:21]
	v_mov_b32_e32 v35, v24
	s_wait_kmcnt 0x0
	v_mul_lo_u32 v17, s11, v174
	v_mul_lo_u32 v18, s10, v175
	v_mad_co_u64_u32 v[10:11], null, s10, v174, 0
	v_mad_co_u64_u32 v[47:48], null, s19, v47, v[44:45]
	v_mov_b32_e32 v5, v13
	v_lshlrev_b64_e32 v[22:23], 4, v[22:23]
	v_lshlrev_b64_e32 v[34:35], 4, v[34:35]
	v_lshlrev_b64_e32 v[36:37], 4, v[36:37]
	v_add3_u32 v11, v11, v18, v17
	v_lshlrev_b64_e32 v[38:39], 4, v[38:39]
	v_mov_b32_e32 v44, v47
	v_mad_co_u64_u32 v[47:48], null, s18, v51, 0
	s_delay_alu instid0(VALU_DEP_4)
	v_lshlrev_b64_e32 v[9:10], 4, v[10:11]
	v_mad_co_u64_u32 v[11:12], null, s19, v16, v[7:8]
	v_mad_co_u64_u32 v[16:17], null, s18, v15, 0
	v_lshlrev_b64_e32 v[41:42], 4, v[41:42]
	v_mad_co_u64_u32 v[49:50], null, s19, v49, v[46:47]
	v_mov_b32_e32 v7, v14
	v_add_co_u32 v12, s0, s4, v9
	s_wait_alu 0xf1ff
	v_add_co_ci_u32_e64 v10, s0, s5, v10, s0
	v_lshlrev_b64_e32 v[43:44], 4, v[43:44]
	v_mov_b32_e32 v46, v49
	v_mad_co_u64_u32 v[49:50], null, s18, v53, 0
	v_add_co_u32 v32, s0, v12, v2
	v_or_b32_e32 v12, 0xf0, v204
	s_wait_alu 0xf1ff
	v_add_co_ci_u32_e64 v33, s0, v10, v3, s0
	v_lshlrev_b64_e32 v[2:3], 4, v[4:5]
	v_mad_co_u64_u32 v[51:52], null, s19, v51, v[48:49]
	v_mov_b32_e32 v9, v11
	v_mad_co_u64_u32 v[18:19], null, s18, v12, 0
	v_lshlrev_b64_e32 v[4:5], 4, v[6:7]
	v_add_co_u32 v0, s0, v32, v0
	v_mov_b32_e32 v48, v51
	v_mad_co_u64_u32 v[51:52], null, s18, v55, 0
	v_lshlrev_b64_e32 v[6:7], 4, v[8:9]
	v_mov_b32_e32 v8, v17
	s_wait_alu 0xf1ff
	v_add_co_ci_u32_e64 v1, s0, v33, v1, s0
	v_add_co_u32 v2, s0, v32, v2
	v_mad_co_u64_u32 v[53:54], null, s19, v53, v[50:51]
	v_mad_co_u64_u32 v[8:9], null, s19, v15, v[8:9]
	v_mov_b32_e32 v9, v19
	s_wait_alu 0xf1ff
	v_add_co_ci_u32_e64 v3, s0, v33, v3, s0
	v_add_co_u32 v4, s0, v32, v4
	v_mov_b32_e32 v50, v53
	v_mad_co_u64_u32 v[53:54], null, s18, v57, 0
	s_wait_alu 0xf1ff
	v_add_co_ci_u32_e64 v5, s0, v33, v5, s0
	v_add_co_u32 v10, s0, v32, v6
	s_wait_alu 0xf1ff
	v_add_co_ci_u32_e64 v11, s0, v33, v7, s0
	s_delay_alu instid0(VALU_DEP_4)
	v_mad_co_u64_u32 v[55:56], null, s19, v55, v[52:53]
	v_mov_b32_e32 v17, v8
	v_mad_co_u64_u32 v[6:7], null, s19, v12, v[9:10]
	v_lshlrev_b64_e32 v[45:46], 4, v[45:46]
	v_lshlrev_b64_e32 v[47:48], 4, v[47:48]
	;; [unrolled: 1-line block ×3, first 2 shown]
	v_mov_b32_e32 v52, v55
	v_mad_co_u64_u32 v[55:56], null, s18, v62, 0
	v_lshlrev_b64_e32 v[16:17], 4, v[16:17]
	v_or_b32_e32 v207, 32, v204
	v_or_b32_e32 v70, 0x80, v204
	;; [unrolled: 1-line block ×4, first 2 shown]
	s_clause 0x1
	global_load_b128 v[12:15], v[0:1], off
	global_load_b128 v[0:3], v[2:3], off
	v_mad_co_u64_u32 v[57:58], null, s19, v57, v[54:55]
	v_mov_b32_e32 v19, v6
	v_add_co_u32 v16, s0, v32, v16
	s_wait_alu 0xf1ff
	v_add_co_ci_u32_e64 v17, s0, v33, v17, s0
	s_clause 0x1
	global_load_b128 v[4:7], v[4:5], off
	global_load_b128 v[8:11], v[10:11], off
	v_mov_b32_e32 v54, v57
	v_lshlrev_b64_e32 v[18:19], 4, v[18:19]
	v_or_b32_e32 v57, 0x50, v204
	s_delay_alu instid0(VALU_DEP_2) | instskip(SKIP_1) | instid1(VALU_DEP_3)
	v_add_co_u32 v18, s0, v32, v18
	s_wait_alu 0xf1ff
	v_add_co_ci_u32_e64 v19, s0, v33, v19, s0
	v_add_co_u32 v20, s0, v32, v20
	s_wait_alu 0xf1ff
	v_add_co_ci_u32_e64 v21, s0, v33, v21, s0
	;; [unrolled: 3-line block ×11, first 2 shown]
	v_lshlrev_b64_e32 v[49:50], 4, v[51:52]
	v_mov_b32_e32 v51, v56
	s_clause 0x3
	global_load_b128 v[24:27], v[16:17], off
	global_load_b128 v[28:31], v[18:19], off
	;; [unrolled: 1-line block ×4, first 2 shown]
	v_mad_co_u64_u32 v[51:52], null, s19, v62, v[51:52]
	v_add_co_u32 v62, s0, v32, v49
	s_wait_alu 0xf1ff
	v_add_co_ci_u32_e64 v63, s0, v33, v50, s0
	v_lshlrev_b64_e32 v[49:50], 4, v[53:54]
	v_mad_co_u64_u32 v[53:54], null, s18, v207, 0
	v_mov_b32_e32 v52, v61
	v_mov_b32_e32 v56, v51
	s_delay_alu instid0(VALU_DEP_2)
	v_mad_co_u64_u32 v[51:52], null, s19, v64, v[52:53]
	v_add_co_u32 v64, s0, v32, v49
	s_wait_alu 0xf1ff
	v_add_co_ci_u32_e64 v65, s0, v33, v50, s0
	v_lshlrev_b64_e32 v[49:50], 4, v[55:56]
	v_mov_b32_e32 v52, v54
	v_mad_co_u64_u32 v[55:56], null, s18, v57, 0
	v_mov_b32_e32 v61, v51
	s_delay_alu instid0(VALU_DEP_3) | instskip(SKIP_1) | instid1(VALU_DEP_4)
	v_mad_co_u64_u32 v[51:52], null, s19, v207, v[52:53]
	v_add_co_u32 v66, s0, v32, v49
	v_mov_b32_e32 v52, v56
	s_wait_alu 0xf1ff
	v_add_co_ci_u32_e64 v67, s0, v33, v50, s0
	s_delay_alu instid0(VALU_DEP_4) | instskip(NEXT) | instid1(VALU_DEP_3)
	v_mov_b32_e32 v54, v51
	v_mad_co_u64_u32 v[51:52], null, s19, v57, v[52:53]
	v_or_b32_e32 v57, 0xb0, v204
	s_delay_alu instid0(VALU_DEP_2) | instskip(SKIP_2) | instid1(VALU_DEP_2)
	v_mov_b32_e32 v56, v51
	v_lshlrev_b64_e32 v[49:50], 4, v[60:61]
	v_mad_co_u64_u32 v[60:61], null, s18, v70, 0
	v_add_co_u32 v68, s0, v32, v49
	s_wait_alu 0xf1ff
	s_delay_alu instid0(VALU_DEP_3) | instskip(SKIP_3) | instid1(VALU_DEP_1)
	v_add_co_ci_u32_e64 v69, s0, v33, v50, s0
	v_lshlrev_b64_e32 v[49:50], 4, v[53:54]
	v_mad_co_u64_u32 v[53:54], null, s18, v57, 0
	v_mov_b32_e32 v52, v61
	v_mad_co_u64_u32 v[51:52], null, s19, v70, v[52:53]
	s_delay_alu instid0(VALU_DEP_4)
	v_add_co_u32 v70, s0, v32, v49
	s_wait_alu 0xf1ff
	v_add_co_ci_u32_e64 v71, s0, v33, v50, s0
	v_lshlrev_b64_e32 v[49:50], 4, v[55:56]
	v_mov_b32_e32 v52, v54
	v_mad_co_u64_u32 v[55:56], null, s18, v74, 0
	v_mov_b32_e32 v61, v51
	s_delay_alu instid0(VALU_DEP_3) | instskip(SKIP_1) | instid1(VALU_DEP_4)
	v_mad_co_u64_u32 v[51:52], null, s19, v57, v[52:53]
	v_add_co_u32 v72, s0, v32, v49
	v_mov_b32_e32 v52, v56
	v_or_b32_e32 v57, 0x110, v204
	s_wait_alu 0xf1ff
	v_add_co_ci_u32_e64 v73, s0, v33, v50, s0
	v_lshlrev_b64_e32 v[49:50], 4, v[60:61]
	v_mov_b32_e32 v54, v51
	v_mad_co_u64_u32 v[60:61], null, s18, v57, 0
	v_mad_co_u64_u32 v[51:52], null, s19, v74, v[52:53]
	v_or_b32_e32 v74, 0x140, v204
	v_add_co_u32 v82, s0, v32, v49
	s_wait_alu 0xf1ff
	v_add_co_ci_u32_e64 v83, s0, v33, v50, s0
	v_lshlrev_b64_e32 v[49:50], 4, v[53:54]
	v_mad_co_u64_u32 v[53:54], null, s18, v74, 0
	v_mov_b32_e32 v52, v61
	v_mov_b32_e32 v56, v51
	s_delay_alu instid0(VALU_DEP_4)
	v_add_co_u32 v84, s0, v32, v49
	s_wait_alu 0xf1ff
	v_add_co_ci_u32_e64 v85, s0, v33, v50, s0
	v_mov_b32_e32 v49, v54
	v_mad_co_u64_u32 v[51:52], null, s19, v57, v[52:53]
	v_lshlrev_b64_e32 v[54:55], 4, v[55:56]
	v_or_b32_e32 v56, 0x170, v204
	v_or_b32_e32 v57, 0x1a0, v204
	v_mad_co_u64_u32 v[49:50], null, s19, v74, v[49:50]
	v_mov_b32_e32 v61, v51
	s_delay_alu instid0(VALU_DEP_4) | instskip(NEXT) | instid1(VALU_DEP_4)
	v_mad_co_u64_u32 v[74:75], null, s18, v56, 0
	v_mad_co_u64_u32 v[76:77], null, s18, v57, 0
	s_delay_alu instid0(VALU_DEP_3)
	v_lshlrev_b64_e32 v[50:51], 4, v[60:61]
	v_mad_co_u64_u32 v[60:61], null, s18, v80, 0
	v_add_co_u32 v86, s0, v32, v54
	v_mov_b32_e32 v52, v75
	s_wait_alu 0xf1ff
	v_add_co_ci_u32_e64 v87, s0, v33, v55, s0
	v_dual_mov_b32 v54, v49 :: v_dual_mov_b32 v49, v77
	v_add_co_u32 v88, s0, v32, v50
	v_mov_b32_e32 v50, v61
	v_mad_co_u64_u32 v[55:56], null, s19, v56, v[52:53]
	s_wait_alu 0xf1ff
	v_add_co_ci_u32_e64 v89, s0, v33, v51, s0
	s_delay_alu instid0(VALU_DEP_3) | instskip(SKIP_1) | instid1(VALU_DEP_4)
	v_mad_co_u64_u32 v[77:78], null, s19, v57, v[49:50]
	v_mad_co_u64_u32 v[49:50], null, s19, v80, v[50:51]
	v_mov_b32_e32 v75, v55
	s_delay_alu instid0(VALU_DEP_2)
	v_mov_b32_e32 v61, v49
	v_lshlrev_b64_e32 v[78:79], 4, v[53:54]
	s_clause 0x1
	global_load_b128 v[54:57], v[34:35], off
	global_load_b128 v[50:53], v[36:37], off
	v_lshlrev_b64_e32 v[34:35], 4, v[74:75]
	v_lshlrev_b64_e32 v[74:75], 4, v[76:77]
	;; [unrolled: 1-line block ×3, first 2 shown]
	v_add_co_u32 v36, s0, v32, v78
	s_wait_alu 0xf1ff
	v_add_co_ci_u32_e64 v37, s0, v33, v79, s0
	v_add_co_u32 v34, s0, v32, v34
	s_wait_alu 0xf1ff
	v_add_co_ci_u32_e64 v35, s0, v33, v35, s0
	;; [unrolled: 3-line block ×4, first 2 shown]
	s_clause 0x13
	global_load_b128 v[120:123], v[38:39], off
	global_load_b128 v[124:127], v[41:42], off
	;; [unrolled: 1-line block ×20, first 2 shown]
.LBB0_13:
	s_or_b32 exec_lo, exec_lo, s1
	s_wait_loadcnt 0x16
	v_add_f64_e32 v[32:33], v[20:21], v[28:29]
	s_wait_loadcnt 0x14
	v_add_f64_e32 v[34:35], v[10:11], v[52:53]
	v_add_f64_e32 v[36:37], v[8:9], v[50:51]
	s_wait_loadcnt 0xc
	v_add_f64_e32 v[38:39], v[76:77], v[112:113]
	s_wait_loadcnt 0xa
	v_add_f64_e32 v[41:42], v[58:59], v[136:137]
	v_add_f64_e32 v[43:44], v[74:75], v[110:111]
	v_add_f64_e64 v[45:46], v[10:11], -v[52:53]
	v_add_f64_e32 v[47:48], v[22:23], v[30:31]
	v_add_f64_e64 v[118:119], v[28:29], -v[20:21]
	v_add_f64_e64 v[140:141], v[30:31], -v[22:23]
	;; [unrolled: 1-line block ×4, first 2 shown]
	v_add_f64_e32 v[146:147], v[60:61], v[138:139]
	v_add_f64_e64 v[148:149], v[138:139], -v[60:61]
	s_mov_b32 s14, 0x134454ff
	s_mov_b32 s15, 0x3fee6f0e
	;; [unrolled: 1-line block ×4, first 2 shown]
	v_add_f64_e64 v[154:155], v[8:9], -v[28:29]
	v_add_f64_e64 v[156:157], v[50:51], -v[20:21]
	;; [unrolled: 1-line block ×6, first 2 shown]
	v_add_f64_e32 v[170:171], v[24:25], v[16:17]
	v_add_f64_e32 v[172:173], v[54:55], v[4:5]
	v_add_f64_e64 v[176:177], v[136:137], -v[110:111]
	v_add_f64_e64 v[180:181], v[58:59], -v[74:75]
	;; [unrolled: 1-line block ×3, first 2 shown]
	v_add_f64_e32 v[184:185], v[94:95], v[78:79]
	v_add_f64_e64 v[186:187], v[74:75], -v[58:59]
	v_add_f64_e64 v[188:189], v[8:9], -v[50:51]
	;; [unrolled: 1-line block ×3, first 2 shown]
	v_add_f64_e32 v[198:199], v[90:91], v[62:63]
	v_add_f64_e64 v[200:201], v[60:61], -v[76:77]
	v_add_f64_e64 v[208:209], v[110:111], -v[74:75]
	s_mov_b32 s12, 0x4755a5e
	s_mov_b32 s13, 0x3fe2cf23
	v_fma_f64 v[32:33], v[32:33], -0.5, v[0:1]
	v_fma_f64 v[34:35], v[34:35], -0.5, v[2:3]
	;; [unrolled: 1-line block ×6, first 2 shown]
	s_mov_b32 s11, 0xbfe2cf23
	v_fma_f64 v[47:48], v[47:48], -0.5, v[2:3]
	s_mov_b32 s10, s12
	v_add_f64_e64 v[162:163], v[10:11], -v[30:31]
	v_add_f64_e64 v[164:165], v[52:53], -v[22:23]
	;; [unrolled: 1-line block ×3, first 2 shown]
	v_fma_f64 v[146:147], v[146:147], -0.5, v[126:127]
	v_add_f64_e64 v[214:215], v[26:27], -v[18:19]
	v_add_f64_e32 v[218:219], v[4:5], v[12:13]
	v_add_f64_e32 v[0:1], v[0:1], v[8:9]
	v_add_f64_e64 v[8:9], v[112:113], -v[138:139]
	v_add_f64_e64 v[220:221], v[76:77], -v[60:61]
	;; [unrolled: 1-line block ×4, first 2 shown]
	v_add_f64_e32 v[226:227], v[90:91], v[120:121]
	v_add_f64_e32 v[124:125], v[124:125], v[136:137]
	;; [unrolled: 1-line block ×4, first 2 shown]
	v_fma_f64 v[136:137], v[170:171], -0.5, v[12:13]
	v_add_f64_e32 v[158:159], v[168:169], v[166:167]
	v_fma_f64 v[12:13], v[172:173], -0.5, v[12:13]
	v_add_f64_e32 v[160:161], v[180:181], v[176:177]
	s_mov_b32 s18, 0x372fe950
	v_fma_f64 v[166:167], v[184:185], -0.5, v[120:121]
	v_add_f64_e32 v[168:169], v[186:187], v[182:183]
	s_mov_b32 s19, 0x3fd3c6ef
	v_add_f64_e64 v[150:151], v[4:5], -v[24:25]
	v_fma_f64 v[120:121], v[198:199], -0.5, v[120:121]
	v_add_f64_e64 v[152:153], v[54:55], -v[16:17]
	v_add_f64_e64 v[198:199], v[62:63], -v[78:79]
	s_mov_b32 s20, 0x9b97f4a8
	s_mov_b32 s21, 0x3fe9e377
	v_fma_f64 v[190:191], v[45:46], s[14:15], v[32:33]
	v_fma_f64 v[194:195], v[118:119], s[14:15], v[34:35]
	;; [unrolled: 1-line block ×3, first 2 shown]
	s_wait_alu 0xfffe
	v_fma_f64 v[32:33], v[45:46], s[4:5], v[32:33]
	v_fma_f64 v[210:211], v[144:145], s[4:5], v[38:39]
	;; [unrolled: 1-line block ×13, first 2 shown]
	v_add_f64_e32 v[162:163], v[164:165], v[162:163]
	v_add_f64_e32 v[164:165], v[24:25], v[218:219]
	s_wait_loadcnt 0x0
	v_add_f64_e64 v[232:233], v[72:73], -v[84:85]
	v_add_f64_e64 v[234:235], v[108:109], -v[134:135]
	v_add_f64_e32 v[218:219], v[94:95], v[226:227]
	v_add_f64_e32 v[110:111], v[110:111], v[124:125]
	v_mul_u32_u24_e32 v40, 0x1e0, v40
	v_cmp_gt_u32_e64 s0, 12, v204
	v_fma_f64 v[124:125], v[202:203], s[14:15], v[136:137]
	v_fma_f64 v[226:227], v[214:215], s[4:5], v[12:13]
	;; [unrolled: 1-line block ×9, first 2 shown]
	v_add_f64_e32 v[140:141], v[200:201], v[192:193]
	v_fma_f64 v[184:185], v[208:209], s[10:11], v[210:211]
	v_fma_f64 v[190:191], v[148:149], s[12:13], v[212:213]
	;; [unrolled: 1-line block ×4, first 2 shown]
	v_add_f64_e64 v[192:193], v[24:25], -v[4:5]
	v_add_f64_e64 v[194:195], v[16:17], -v[54:55]
	;; [unrolled: 1-line block ×5, first 2 shown]
	v_add_f64_e32 v[212:213], v[0:1], v[28:29]
	v_add_f64_e32 v[216:217], v[220:221], v[8:9]
	v_fma_f64 v[220:221], v[202:203], s[4:5], v[136:137]
	v_fma_f64 v[36:37], v[45:46], s[12:13], v[36:37]
	;; [unrolled: 1-line block ×9, first 2 shown]
	v_add_f64_e32 v[110:111], v[74:75], v[110:111]
	v_fma_f64 v[124:125], v[214:215], s[12:13], v[124:125]
	v_fma_f64 v[170:171], v[202:203], s[10:11], v[228:229]
	v_add_f64_e64 v[208:209], v[86:87], -v[66:67]
	v_add_f64_e64 v[228:229], v[82:83], -v[70:71]
	v_fma_f64 v[166:167], v[224:225], s[10:11], v[166:167]
	v_fma_f64 v[176:177], v[154:155], s[18:19], v[172:173]
	;; [unrolled: 1-line block ×11, first 2 shown]
	v_add_f64_e32 v[41:42], v[152:153], v[150:151]
	v_add_f64_e32 v[144:145], v[194:195], v[192:193]
	;; [unrolled: 1-line block ×7, first 2 shown]
	v_fma_f64 v[164:165], v[214:215], s[10:11], v[220:221]
	v_fma_f64 v[168:169], v[202:203], s[12:13], v[226:227]
	;; [unrolled: 1-line block ×11, first 2 shown]
	v_add_f64_e32 v[142:143], v[98:99], v[66:67]
	v_add_f64_e32 v[156:157], v[106:107], v[82:83]
	;; [unrolled: 1-line block ×3, first 2 shown]
	v_add_f64_e64 v[198:199], v[98:99], -v[102:103]
	v_add_f64_e64 v[200:201], v[66:67], -v[86:87]
	v_add_f64_e32 v[212:213], v[86:87], v[102:103]
	v_add_f64_e64 v[214:215], v[104:105], -v[88:89]
	v_add_f64_e32 v[220:221], v[70:71], v[132:133]
	v_add_f64_e64 v[202:203], v[102:103], -v[98:99]
	v_add_f64_e64 v[210:211], v[132:133], -v[106:107]
	v_mul_f64_e32 v[36:37], s[20:21], v[176:177]
	v_mul_f64_e32 v[45:46], s[14:15], v[136:137]
	;; [unrolled: 1-line block ×4, first 2 shown]
	v_fma_f64 v[32:33], v[222:223], s[12:13], v[32:33]
	v_mul_f64_e32 v[38:39], s[12:13], v[8:9]
	v_fma_f64 v[74:75], v[216:217], s[18:19], v[120:121]
	v_mul_f64_e32 v[120:121], s[18:19], v[28:29]
	v_mul_f64_e32 v[140:141], s[20:21], v[12:13]
	;; [unrolled: 1-line block ×3, first 2 shown]
	v_fma_f64 v[124:125], v[41:42], s[18:19], v[124:125]
	v_fma_f64 v[160:161], v[144:145], s[18:19], v[170:171]
	;; [unrolled: 1-line block ×3, first 2 shown]
	v_add_f64_e64 v[222:223], v[134:135], -v[72:73]
	v_add_f64_e32 v[150:151], v[54:55], v[150:151]
	v_add_f64_e32 v[49:50], v[50:51], v[152:153]
	v_add_f64_e32 v[154:155], v[62:63], v[154:155]
	v_fma_f64 v[152:153], v[41:42], s[18:19], v[164:165]
	v_fma_f64 v[158:159], v[144:145], s[18:19], v[168:169]
	;; [unrolled: 1-line block ×3, first 2 shown]
	v_add_f64_e64 v[218:219], v[70:71], -v[82:83]
	v_add_f64_e64 v[226:227], v[106:107], -v[132:133]
	;; [unrolled: 1-line block ×3, first 2 shown]
	v_fma_f64 v[168:169], v[148:149], s[18:19], v[118:119]
	v_fma_f64 v[216:217], v[142:143], -0.5, v[114:115]
	v_fma_f64 v[224:225], v[156:157], -0.5, v[128:129]
	v_fma_f64 v[36:37], v[20:21], s[12:13], v[36:37]
	v_fma_f64 v[45:46], v[182:183], s[18:19], v[45:46]
	v_fma_f64 v[34:35], v[186:187], s[14:15], -v[34:35]
	v_fma_f64 v[47:48], v[184:185], s[12:13], -v[47:48]
	v_fma_f64 v[32:33], v[148:149], s[18:19], v[32:33]
	v_fma_f64 v[38:39], v[190:191], s[20:21], v[38:39]
	v_fma_f64 v[194:195], v[192:193], s[14:15], -v[120:121]
	v_fma_f64 v[196:197], v[188:189], s[12:13], -v[140:141]
	v_fma_f64 v[164:165], v[74:75], s[14:15], v[43:44]
	v_add_f64_e32 v[41:42], v[49:50], v[150:151]
	v_add_f64_e64 v[120:121], v[150:151], -v[49:50]
	v_fma_f64 v[49:50], v[214:215], s[4:5], v[216:217]
	v_add_f64_e32 v[43:44], v[124:125], v[36:37]
	v_add_f64_e64 v[140:141], v[124:125], -v[36:37]
	v_add_f64_e64 v[142:143], v[158:159], -v[45:46]
	v_add_f64_e32 v[144:145], v[45:46], v[158:159]
	v_add_f64_e32 v[146:147], v[34:35], v[160:161]
	;; [unrolled: 1-line block ×3, first 2 shown]
	v_add_f64_e64 v[148:149], v[160:161], -v[34:35]
	v_add_f64_e64 v[150:151], v[152:153], -v[47:48]
	v_add_f64_e32 v[152:153], v[58:59], v[154:155]
	v_add_f64_e64 v[158:159], v[154:155], -v[58:59]
	v_add_f64_e32 v[154:155], v[110:111], v[38:39]
	;; [unrolled: 2-line block ×3, first 2 shown]
	v_add_f64_e32 v[156:157], v[170:171], v[196:197]
	v_add_f64_e64 v[168:169], v[168:169], -v[194:195]
	v_add_f64_e64 v[170:171], v[170:171], -v[196:197]
	;; [unrolled: 1-line block ×3, first 2 shown]
	v_add_f64_e32 v[36:37], v[200:201], v[198:199]
	v_add_f64_e64 v[38:39], v[108:109], -v[84:85]
	v_fma_f64 v[45:46], v[212:213], -0.5, v[114:115]
	v_fma_f64 v[58:59], v[214:215], s[14:15], v[216:217]
	v_fma_f64 v[110:111], v[220:221], -0.5, v[128:129]
	v_fma_f64 v[194:195], v[222:223], s[14:15], v[224:225]
	v_fma_f64 v[196:197], v[222:223], s[4:5], v[224:225]
	v_add_f64_e32 v[198:199], v[108:109], v[84:85]
	v_add_f64_e32 v[47:48], v[208:209], v[202:203]
	;; [unrolled: 1-line block ×5, first 2 shown]
	v_add_f64_e64 v[216:217], v[106:107], -v[82:83]
	v_add_f64_e64 v[162:163], v[32:33], -v[164:165]
	v_add_f64_e32 v[164:165], v[32:33], v[164:165]
	v_add_f64_e64 v[32:33], v[84:85], -v[72:73]
	v_add_f64_e32 v[202:203], v[232:233], v[230:231]
	v_fma_f64 v[49:50], v[34:35], s[12:13], v[49:50]
	v_fma_f64 v[210:211], v[34:35], s[14:15], v[45:46]
	;; [unrolled: 1-line block ×8, first 2 shown]
	v_add_f64_e64 v[196:197], v[132:133], -v[70:71]
	v_fma_f64 v[198:199], v[198:199], -0.5, v[130:131]
	v_fma_f64 v[208:209], v[208:209], -0.5, v[130:131]
	v_add_f64_e32 v[32:33], v[32:33], v[234:235]
	v_fma_f64 v[45:46], v[214:215], s[10:11], v[45:46]
	v_fma_f64 v[212:213], v[222:223], s[12:13], v[58:59]
	;; [unrolled: 1-line block ×13, first 2 shown]
	v_add_f64_e32 v[38:39], v[114:115], v[98:99]
	v_add_f64_e32 v[110:111], v[132:133], v[128:129]
	v_fma_f64 v[218:219], v[196:197], s[10:11], v[218:219]
	v_fma_f64 v[208:209], v[196:197], s[12:13], v[208:209]
	;; [unrolled: 1-line block ×5, first 2 shown]
	v_lshlrev_b32_e32 v212, 3, v40
	v_mul_u32_u24_e32 v40, 10, v204
	v_lshlrev_b32_e32 v213, 3, v205
	v_fma_f64 v[132:133], v[202:203], s[18:19], v[220:221]
	v_fma_f64 v[202:203], v[202:203], s[18:19], v[216:217]
	v_mul_f64_e32 v[47:48], s[20:21], v[198:199]
	v_add_f64_e32 v[38:39], v[38:39], v[102:103]
	v_add_f64_e32 v[106:107], v[106:107], v[110:111]
	v_fma_f64 v[110:111], v[214:215], s[12:13], v[210:211]
	v_fma_f64 v[200:201], v[32:33], s[18:19], v[208:209]
	v_mul_f64_e32 v[49:50], s[18:19], v[196:197]
	v_fma_f64 v[47:48], v[132:133], s[12:13], v[47:48]
	v_add_f64_e32 v[34:35], v[86:87], v[38:39]
	v_add_f64_e32 v[38:39], v[82:83], v[106:107]
	v_mul_f64_e32 v[106:107], s[20:21], v[58:59]
	v_fma_f64 v[82:83], v[32:33], s[18:19], v[218:219]
	v_mul_f64_e32 v[32:33], s[18:19], v[194:195]
	v_fma_f64 v[110:111], v[36:37], s[18:19], v[110:111]
	v_add_f64_e32 v[34:35], v[66:67], v[34:35]
	v_add_f64_e32 v[38:39], v[70:71], v[38:39]
	v_fma_f64 v[106:107], v[202:203], s[12:13], -v[106:107]
	v_fma_f64 v[70:71], v[82:83], s[14:15], v[49:50]
	v_fma_f64 v[128:129], v[200:201], s[14:15], -v[32:33]
	v_add_f64_e32 v[210:211], v[110:111], v[47:48]
	v_add_f64_e64 v[48:49], v[110:111], -v[47:48]
	v_add_f64_e32 v[208:209], v[34:35], v[38:39]
	v_add_f64_e64 v[34:35], v[34:35], -v[38:39]
	;; [unrolled: 2-line block ×3, first 2 shown]
	v_add_f64_e32 v[215:216], v[114:115], v[70:71]
	v_add_f64_e32 v[217:218], v[124:125], v[128:129]
	v_add_f64_e64 v[36:37], v[124:125], -v[128:129]
	v_add_f64_e64 v[38:39], v[45:46], -v[106:107]
	v_add_nc_u32_e32 v45, 0, v212
	s_delay_alu instid0(VALU_DEP_1)
	v_lshl_add_u32 v70, v40, 3, v45
	v_mul_i32_i24_e32 v40, 10, v206
	ds_store_b128 v70, v[41:44]
	ds_store_b128 v70, v[144:147] offset:16
	v_mul_i32_i24_e32 v41, 10, v207
	v_lshl_add_u32 v214, v40, 3, v45
	v_lshlrev_b32_e32 v40, 3, v204
	ds_store_b128 v70, v[118:121] offset:32
	ds_store_b128 v70, v[140:143] offset:48
	;; [unrolled: 1-line block ×3, first 2 shown]
                                        ; implicit-def: $vgpr120_vgpr121
	v_lshl_add_u32 v71, v41, 3, v45
	ds_store_b128 v214, v[152:155]
	ds_store_b128 v214, v[164:167] offset:16
	ds_store_b128 v214, v[156:159] offset:32
	;; [unrolled: 1-line block ×4, first 2 shown]
	ds_store_b128 v71, v[208:211]
	ds_store_b128 v71, v[215:218] offset:16
	v_add3_u32 v211, 0, v40, v212
	v_add_nc_u32_e32 v208, v45, v40
	v_lshl_add_u32 v210, v207, 3, v45
	v_lshl_add_u32 v209, v206, 3, v45
	s_load_b64 s[2:3], s[2:3], 0x0
	ds_store_b128 v71, v[32:35] offset:32
	ds_store_b128 v71, v[48:51] offset:48
	;; [unrolled: 1-line block ×3, first 2 shown]
	global_wb scope:SCOPE_SE
	s_wait_dscnt 0x0
	s_wait_kmcnt 0x0
	s_barrier_signal -1
	s_barrier_wait -1
	global_inv scope:SCOPE_SE
	v_add_nc_u32_e32 v215, 0x800, v211
	ds_load_b64 v[124:125], v208
	ds_load_b64 v[106:107], v210
	;; [unrolled: 1-line block ×3, first 2 shown]
	ds_load_b64 v[128:129], v211 offset:3616
                                        ; implicit-def: $vgpr114_vgpr115
	ds_load_2addr_b64 v[152:155], v211 offset0:60 offset1:76
	ds_load_2addr_b64 v[144:147], v211 offset0:92 offset1:120
	;; [unrolled: 1-line block ×8, first 2 shown]
	ds_load_2addr_b64 v[44:47], v215 offset1:16
	ds_load_2addr_b64 v[156:159], v215 offset0:120 offset1:136
	s_and_saveexec_b32 s1, s0
	s_cbranch_execz .LBB0_15
; %bb.14:
	v_add_nc_u32_e32 v32, 0x400, v211
	ds_load_2addr_b64 v[216:219], v211 offset0:108 offset1:168
	ds_load_2addr_b64 v[118:121], v215 offset0:92 offset1:152
	;; [unrolled: 1-line block ×3, first 2 shown]
	v_add3_u32 v32, 0, v213, v212
	ds_load_b64 v[32:33], v32
	ds_load_b64 v[114:115], v211 offset:3744
	s_wait_dscnt 0x4
	v_mov_b32_e32 v34, v216
	s_wait_dscnt 0x3
	v_mov_b32_e32 v38, v118
	;; [unrolled: 2-line block ×3, first 2 shown]
	v_mov_b32_e32 v36, v222
	v_dual_mov_b32 v48, v218 :: v_dual_mov_b32 v49, v219
	v_mov_b32_e32 v35, v217
	v_mov_b32_e32 v39, v119
	;; [unrolled: 1-line block ×4, first 2 shown]
.LBB0_15:
	s_wait_alu 0xfffe
	s_or_b32 exec_lo, exec_lo, s1
	v_add_f64_e32 v[118:119], v[26:27], v[18:19]
	v_add_f64_e32 v[216:217], v[56:57], v[6:7]
	;; [unrolled: 1-line block ×7, first 2 shown]
	v_add_f64_e64 v[4:5], v[4:5], -v[54:55]
	v_add_f64_e32 v[2:3], v[2:3], v[10:11]
	v_add_f64_e32 v[54:55], v[126:127], v[138:139]
	;; [unrolled: 1-line block ×4, first 2 shown]
	v_add_f64_e64 v[16:17], v[24:25], -v[16:17]
	v_add_f64_e32 v[10:11], v[92:93], v[122:123]
	v_add_f64_e64 v[62:63], v[90:91], -v[62:63]
	v_add_f64_e64 v[78:79], v[94:95], -v[78:79]
	;; [unrolled: 1-line block ×5, first 2 shown]
	v_mul_f64_e32 v[176:177], s[10:11], v[176:177]
	v_mul_f64_e32 v[182:183], s[4:5], v[182:183]
	;; [unrolled: 1-line block ×8, first 2 shown]
	global_wb scope:SCOPE_SE
	s_wait_dscnt 0x0
	s_barrier_signal -1
	s_barrier_wait -1
	global_inv scope:SCOPE_SE
	v_fma_f64 v[24:25], v[118:119], -0.5, v[14:15]
	v_fma_f64 v[14:15], v[216:217], -0.5, v[14:15]
	v_fma_f64 v[90:91], v[218:219], -0.5, v[122:123]
	v_fma_f64 v[94:95], v[220:221], -0.5, v[122:123]
	v_fma_f64 v[98:99], v[222:223], -0.5, v[116:117]
	v_fma_f64 v[102:103], v[224:225], -0.5, v[116:117]
	v_add_f64_e64 v[116:117], v[6:7], -v[26:27]
	v_add_f64_e64 v[118:119], v[56:57], -v[18:19]
	;; [unrolled: 1-line block ×3, first 2 shown]
	v_add_f64_e32 v[26:27], v[26:27], v[226:227]
	v_add_f64_e32 v[2:3], v[2:3], v[30:31]
	;; [unrolled: 1-line block ×6, first 2 shown]
	v_add_f64_e64 v[112:113], v[18:19], -v[56:57]
	v_add_f64_e64 v[130:131], v[92:93], -v[96:97]
	;; [unrolled: 1-line block ×8, first 2 shown]
	v_fma_f64 v[8:9], v[8:9], s[20:21], v[190:191]
	v_fma_f64 v[74:75], v[74:75], s[18:19], v[180:181]
	;; [unrolled: 1-line block ×14, first 2 shown]
	v_add_f64_e32 v[116:117], v[118:119], v[116:117]
	v_add_f64_e32 v[18:19], v[18:19], v[26:27]
	;; [unrolled: 1-line block ×12, first 2 shown]
	v_fma_f64 v[112:113], v[172:173], s[4:5], -v[186:187]
	v_fma_f64 v[54:55], v[16:17], s[10:11], v[122:123]
	v_fma_f64 v[76:77], v[4:5], s[10:11], v[126:127]
	;; [unrolled: 1-line block ×8, first 2 shown]
	v_mul_f64_e32 v[16:17], s[10:11], v[198:199]
	v_mul_f64_e32 v[94:95], s[20:21], v[202:203]
	v_fma_f64 v[104:105], v[86:87], s[10:11], v[222:223]
	v_mul_f64_e32 v[24:25], s[4:5], v[196:197]
	v_mul_f64_e32 v[90:91], s[18:19], v[200:201]
	v_fma_f64 v[108:109], v[66:67], s[10:11], v[224:225]
	v_fma_f64 v[66:67], v[66:67], s[12:13], v[102:103]
	;; [unrolled: 1-line block ×4, first 2 shown]
	v_add_f64_e32 v[18:19], v[56:57], v[18:19]
	v_add_f64_e32 v[2:3], v[52:53], v[2:3]
	;; [unrolled: 1-line block ×5, first 2 shown]
	v_fma_f64 v[102:103], v[136:137], s[18:19], v[182:183]
	v_add_f64_e32 v[10:11], v[64:65], v[10:11]
	v_fma_f64 v[52:53], v[0:1], s[10:11], -v[184:185]
	v_fma_f64 v[30:31], v[116:117], s[18:19], v[54:55]
	v_fma_f64 v[54:55], v[6:7], s[18:19], v[76:77]
	;; [unrolled: 1-line block ×5, first 2 shown]
	v_fma_f64 v[76:77], v[28:29], s[4:5], -v[192:193]
	v_fma_f64 v[88:89], v[84:85], s[18:19], v[92:93]
	v_fma_f64 v[84:85], v[84:85], s[18:19], v[62:63]
	v_fma_f64 v[116:117], v[12:13], s[10:11], -v[188:189]
	v_fma_f64 v[78:79], v[80:81], s[18:19], v[78:79]
	v_fma_f64 v[92:93], v[132:133], s[20:21], v[16:17]
	;; [unrolled: 3-line block ×4, first 2 shown]
	v_fma_f64 v[86:87], v[96:97], s[18:19], v[86:87]
	v_add_f64_e32 v[0:1], v[2:3], v[18:19]
	v_add_f64_e64 v[6:7], v[18:19], -v[2:3]
	v_add_f64_e64 v[56:57], v[22:23], -v[26:27]
	v_add_f64_e32 v[12:13], v[20:21], v[10:11]
	v_add_f64_e64 v[18:19], v[10:11], -v[20:21]
	v_add_f64_e32 v[20:21], v[22:23], v[26:27]
	v_add_f64_e32 v[2:3], v[30:31], v[98:99]
	;; [unrolled: 1-line block ×5, first 2 shown]
	v_add_f64_e64 v[28:29], v[30:31], -v[98:99]
	v_add_f64_e64 v[30:31], v[54:55], -v[102:103]
	;; [unrolled: 1-line block ×4, first 2 shown]
	v_add_f64_e32 v[14:15], v[72:73], v[8:9]
	v_add_f64_e32 v[66:67], v[88:89], v[74:75]
	;; [unrolled: 1-line block ×4, first 2 shown]
	v_add_f64_e64 v[72:73], v[72:73], -v[8:9]
	v_add_f64_e64 v[74:75], v[88:89], -v[74:75]
	;; [unrolled: 1-line block ×4, first 2 shown]
	v_add_f64_e32 v[22:23], v[58:59], v[92:93]
	v_add_f64_e32 v[80:81], v[104:105], v[118:119]
	;; [unrolled: 1-line block ×4, first 2 shown]
	v_add_f64_e64 v[8:9], v[58:59], -v[92:93]
	v_add_f64_e64 v[10:11], v[104:105], -v[118:119]
	;; [unrolled: 1-line block ×4, first 2 shown]
                                        ; implicit-def: $vgpr94_vgpr95
	ds_store_b128 v70, v[0:3]
	ds_store_b128 v70, v[24:27] offset:16
	ds_store_b128 v70, v[4:7] offset:32
	ds_store_b128 v70, v[28:31] offset:48
	ds_store_b128 v70, v[62:65] offset:64
	ds_store_b128 v214, v[12:15]
	ds_store_b128 v214, v[66:69] offset:16
	ds_store_b128 v214, v[16:19] offset:32
	ds_store_b128 v214, v[72:75] offset:48
	ds_store_b128 v214, v[76:79] offset:64
	;; [unrolled: 5-line block ×3, first 2 shown]
	global_wb scope:SCOPE_SE
	s_wait_dscnt 0x0
	s_barrier_signal -1
	s_barrier_wait -1
	global_inv scope:SCOPE_SE
	ds_load_b64 v[52:53], v208
	ds_load_2addr_b64 v[62:65], v211 offset0:60 offset1:76
	ds_load_2addr_b64 v[28:31], v211 offset0:92 offset1:120
	;; [unrolled: 1-line block ×8, first 2 shown]
	ds_load_2addr_b64 v[4:7], v215 offset1:16
	ds_load_2addr_b64 v[74:77], v215 offset0:120 offset1:136
	ds_load_b64 v[90:91], v210
	ds_load_b64 v[92:93], v209
	ds_load_b64 v[96:97], v211 offset:3616
                                        ; implicit-def: $vgpr14_vgpr15
	s_and_saveexec_b32 s1, s0
	s_cbranch_execz .LBB0_17
; %bb.16:
	v_add_nc_u32_e32 v8, 0x400, v211
	ds_load_2addr_b64 v[16:19], v211 offset0:108 offset1:168
	ds_load_2addr_b64 v[20:23], v8 offset0:100 offset1:160
	v_add_nc_u32_e32 v9, 0x800, v211
	v_add3_u32 v8, 0, v213, v212
	s_wait_dscnt 0x1
	v_dual_mov_b32 v57, v17 :: v_dual_mov_b32 v56, v16
	ds_load_2addr_b64 v[12:15], v9 offset0:92 offset1:152
	ds_load_b64 v[54:55], v8
	ds_load_b64 v[94:95], v211 offset:3744
	s_wait_dscnt 0x3
	v_dual_mov_b32 v10, v20 :: v_dual_mov_b32 v11, v21
	v_dual_mov_b32 v59, v23 :: v_dual_mov_b32 v58, v22
	;; [unrolled: 1-line block ×3, first 2 shown]
	s_wait_dscnt 0x2
	v_dual_mov_b32 v61, v13 :: v_dual_mov_b32 v60, v12
.LBB0_17:
	s_wait_alu 0xfffe
	s_or_b32 exec_lo, exec_lo, s1
	v_and_b32_e32 v16, 0xff, v206
	v_dual_mov_b32 v13, 0 :: v_dual_add_nc_u32 v12, -10, v204
	v_cmp_gt_u32_e64 s1, 10, v204
	s_mov_b32 s4, 0x667f3bcd
	s_delay_alu instid0(VALU_DEP_3)
	v_mul_lo_u16 v16, 0xcd, v16
	s_mov_b32 s5, 0x3fe6a09e
	s_mov_b32 s11, 0xbfe6a09e
	s_wait_alu 0xf1ff
	v_cndmask_b32_e64 v126, v12, v204, s1
	s_wait_alu 0xfffe
	s_mov_b32 s10, s4
	v_lshrrev_b16 v131, 11, v16
	s_delay_alu instid0(VALU_DEP_2) | instskip(NEXT) | instid1(VALU_DEP_2)
	v_mul_i32_i24_e32 v12, 7, v126
	v_mul_lo_u16 v16, v131, 10
	s_delay_alu instid0(VALU_DEP_2) | instskip(NEXT) | instid1(VALU_DEP_2)
	v_lshlrev_b64_e32 v[12:13], 4, v[12:13]
	v_sub_nc_u16 v130, v206, v16
	s_delay_alu instid0(VALU_DEP_2) | instskip(NEXT) | instid1(VALU_DEP_2)
	v_add_co_u32 v12, s1, s8, v12
	v_mul_lo_u16 v16, v130, 7
	s_wait_alu 0xf1ff
	s_delay_alu instid0(VALU_DEP_4) | instskip(SKIP_1) | instid1(VALU_DEP_3)
	v_add_co_ci_u32_e64 v13, s1, s9, v13, s1
	v_cmp_lt_u32_e64 s1, 9, v204
	v_and_b32_e32 v16, 0xff, v16
	global_load_b128 v[98:101], v[12:13], off offset:32
	v_lshlrev_b32_e32 v20, 4, v16
	v_and_b32_e32 v16, 0xff, v207
	s_clause 0x3
	global_load_b128 v[102:105], v20, s[8:9] offset:32
	global_load_b128 v[116:119], v[12:13], off offset:96
	global_load_b128 v[135:138], v20, s[8:9] offset:96
	global_load_b128 v[180:183], v20, s[8:9] offset:16
	v_mul_lo_u16 v16, 0xcd, v16
	s_delay_alu instid0(VALU_DEP_1) | instskip(NEXT) | instid1(VALU_DEP_1)
	v_lshrrev_b16 v133, 11, v16
	v_mul_lo_u16 v16, v133, 10
	s_delay_alu instid0(VALU_DEP_1) | instskip(NEXT) | instid1(VALU_DEP_1)
	v_sub_nc_u16 v16, v207, v16
	v_and_b32_e32 v132, 0xff, v16
	s_delay_alu instid0(VALU_DEP_1) | instskip(NEXT) | instid1(VALU_DEP_1)
	v_mul_u32_u24_e32 v16, 7, v132
	v_lshlrev_b32_e32 v108, 4, v16
	s_clause 0xf
	global_load_b128 v[184:187], v108, s[8:9] offset:16
	global_load_b128 v[188:191], v20, s[8:9] offset:80
	;; [unrolled: 1-line block ×4, first 2 shown]
	global_load_b128 v[200:203], v[12:13], off offset:16
	global_load_b128 v[214:217], v[12:13], off offset:80
	global_load_b128 v[218:221], v[12:13], off
	global_load_b128 v[222:225], v20, s[8:9]
	global_load_b128 v[226:229], v[12:13], off offset:64
	global_load_b128 v[230:233], v20, s[8:9] offset:64
	global_load_b128 v[234:237], v108, s[8:9]
	global_load_b128 v[16:19], v[12:13], off offset:48
	global_load_b128 v[20:23], v20, s[8:9] offset:48
	global_load_b128 v[238:241], v108, s[8:9] offset:32
	;; [unrolled: 1-line block ×4, first 2 shown]
	v_and_b32_e32 v12, 0xff, v205
	s_delay_alu instid0(VALU_DEP_1) | instskip(NEXT) | instid1(VALU_DEP_1)
	v_mul_lo_u16 v108, 0xcd, v12
	v_lshrrev_b16 v134, 11, v108
	s_delay_alu instid0(VALU_DEP_1) | instskip(NEXT) | instid1(VALU_DEP_1)
	v_mul_lo_u16 v108, v134, 10
	v_sub_nc_u16 v112, v205, v108
	s_delay_alu instid0(VALU_DEP_1) | instskip(NEXT) | instid1(VALU_DEP_1)
	v_and_b32_e32 v127, 0xff, v112
	v_mul_u32_u24_e32 v112, 7, v127
	s_delay_alu instid0(VALU_DEP_1)
	v_lshlrev_b32_e32 v139, 4, v112
	global_load_b128 v[246:249], v139, s[8:9]
	s_wait_loadcnt_dscnt 0x150a
	v_mul_f64_e32 v[12:13], v[86:87], v[100:101]
	v_mul_f64_e32 v[100:101], v[168:169], v[100:101]
	s_wait_loadcnt 0x14
	v_mul_f64_e32 v[108:109], v[88:89], v[104:105]
	v_mul_f64_e32 v[104:105], v[170:171], v[104:105]
	s_wait_loadcnt_dscnt 0xf03
	v_mul_f64_e32 v[172:173], v[74:75], v[190:191]
	v_mul_f64_e32 v[176:177], v[156:157], v[190:191]
	v_fma_f64 v[112:113], v[168:169], v[98:99], -v[12:13]
	v_fma_f64 v[122:123], v[86:87], v[98:99], v[100:101]
	global_load_b128 v[98:101], v139, s[8:9] offset:32
	v_mul_f64_e32 v[12:13], v[82:83], v[118:119]
	v_mul_f64_e32 v[118:119], v[164:165], v[118:119]
	s_wait_loadcnt 0xa
	v_mul_f64_e32 v[190:191], v[64:65], v[224:225]
	v_fma_f64 v[108:109], v[170:171], v[102:103], -v[108:109]
	v_fma_f64 v[168:169], v[88:89], v[102:103], v[104:105]
	s_clause 0x1
	global_load_b128 v[86:89], v139, s[8:9] offset:64
	global_load_b128 v[102:105], v139, s[8:9] offset:96
	v_fma_f64 v[156:157], v[156:157], v[188:189], -v[172:173]
	v_fma_f64 v[172:173], v[74:75], v[188:189], v[176:177]
	v_mul_f64_e32 v[176:177], v[30:31], v[202:203]
	v_mul_f64_e32 v[188:189], v[62:63], v[220:221]
	v_fma_f64 v[164:165], v[164:165], v[116:117], -v[12:13]
	v_mul_f64_e32 v[12:13], v[84:85], v[137:138]
	v_fma_f64 v[170:171], v[82:83], v[116:117], v[118:119]
	v_mul_f64_e32 v[82:83], v[166:167], v[137:138]
	s_delay_alu instid0(VALU_DEP_3) | instskip(SKIP_2) | instid1(VALU_DEP_4)
	v_fma_f64 v[137:138], v[166:167], v[135:136], -v[12:13]
	v_mul_f64_e32 v[12:13], v[78:79], v[182:183]
	v_mul_f64_e32 v[166:167], v[160:161], v[182:183]
	v_fma_f64 v[135:136], v[84:85], v[135:136], v[82:83]
	s_clause 0x1
	global_load_b128 v[82:85], v139, s[8:9] offset:16
	global_load_b128 v[116:119], v139, s[8:9] offset:80
	v_mul_f64_e32 v[182:183], v[128:129], v[198:199]
	v_add_f64_e64 v[137:138], v[108:109], -v[137:138]
	v_fma_f64 v[160:161], v[160:161], v[180:181], -v[12:13]
	v_fma_f64 v[12:13], v[78:79], v[180:181], v[166:167]
	v_mul_f64_e32 v[78:79], v[80:81], v[186:187]
	v_mul_f64_e32 v[166:167], v[162:163], v[186:187]
	s_wait_dscnt 0x0
	v_mul_f64_e32 v[180:181], v[96:97], v[198:199]
	v_mul_f64_e32 v[186:187], v[142:143], v[216:217]
	v_fma_f64 v[96:97], v[96:97], v[196:197], v[182:183]
	s_wait_loadcnt 0xa
	v_mul_f64_e32 v[182:183], v[2:3], v[18:19]
	s_wait_loadcnt 0x6
	v_mul_f64_e32 v[198:199], v[140:141], v[244:245]
	v_add_f64_e64 v[135:136], v[168:169], -v[135:136]
	v_fma_f64 v[108:109], v[108:109], 2.0, -v[137:138]
	v_fma_f64 v[162:163], v[162:163], v[184:185], -v[78:79]
	v_fma_f64 v[78:79], v[80:81], v[184:185], v[166:167]
	v_mul_f64_e32 v[80:81], v[76:77], v[194:195]
	v_mul_f64_e32 v[166:167], v[158:159], v[194:195]
	;; [unrolled: 1-line block ×4, first 2 shown]
	v_fma_f64 v[128:129], v[128:129], v[196:197], -v[180:181]
	v_mul_f64_e32 v[180:181], v[28:29], v[236:237]
	v_fma_f64 v[146:147], v[146:147], v[200:201], -v[176:177]
	v_mul_f64_e32 v[176:177], v[148:149], v[228:229]
	v_mul_f64_e32 v[196:197], v[152:153], v[220:221]
	v_fma_f64 v[152:153], v[152:153], v[218:219], -v[188:189]
	v_mul_f64_e32 v[188:189], v[6:7], v[26:27]
	v_fma_f64 v[182:183], v[42:43], v[16:17], -v[182:183]
	v_fma_f64 v[80:81], v[158:159], v[192:193], -v[80:81]
	v_mul_f64_e32 v[158:159], v[68:69], v[216:217]
	v_fma_f64 v[166:167], v[76:77], v[192:193], v[166:167]
	v_mul_f64_e32 v[192:193], v[70:71], v[228:229]
	global_load_b128 v[74:77], v139, s[8:9] offset:48
	v_fma_f64 v[68:69], v[68:69], v[214:215], v[186:187]
	v_mul_f64_e32 v[186:187], v[154:155], v[224:225]
	v_fma_f64 v[154:155], v[154:155], v[222:223], -v[190:191]
	v_mul_f64_e32 v[190:191], v[66:67], v[244:245]
	v_fma_f64 v[30:31], v[30:31], v[200:201], v[184:185]
	v_mul_f64_e32 v[184:185], v[4:5], v[22:23]
	v_fma_f64 v[180:181], v[144:145], v[234:235], -v[180:181]
	v_mul_f64_e32 v[144:145], v[144:145], v[236:237]
	v_fma_f64 v[188:189], v[46:47], v[24:25], -v[188:189]
	s_wait_loadcnt 0x6
	v_mul_f64_e32 v[200:201], v[34:35], v[248:249]
	v_fma_f64 v[70:71], v[70:71], v[226:227], v[176:177]
	v_add_f64_e64 v[182:183], v[124:125], -v[182:183]
	v_fma_f64 v[196:197], v[62:63], v[218:219], v[196:197]
	v_add_f64_e64 v[62:63], v[12:13], -v[172:173]
	global_wb scope:SCOPE_SE
	s_wait_loadcnt 0x0
	s_barrier_signal -1
	s_barrier_wait -1
	global_inv scope:SCOPE_SE
	v_fma_f64 v[142:143], v[142:143], v[214:215], -v[158:159]
	v_mul_f64_e32 v[158:159], v[0:1], v[240:241]
	v_fma_f64 v[148:149], v[148:149], v[226:227], -v[192:193]
	v_fma_f64 v[192:193], v[150:151], v[230:231], -v[194:195]
	v_mul_f64_e32 v[194:195], v[40:41], v[240:241]
	v_mul_f64_e32 v[150:151], v[150:151], v[232:233]
	v_fma_f64 v[176:177], v[64:65], v[222:223], v[186:187]
	v_fma_f64 v[139:140], v[140:141], v[242:243], -v[190:191]
	v_add_f64_e64 v[64:65], v[162:163], -v[80:81]
	v_fma_f64 v[184:185], v[44:45], v[20:21], -v[184:185]
	v_fma_f64 v[144:145], v[28:29], v[234:235], v[144:145]
	v_add_f64_e64 v[28:29], v[30:31], -v[68:69]
	v_add_f64_e64 v[172:173], v[106:107], -v[188:189]
	v_fma_f64 v[124:125], v[124:125], 2.0, -v[182:183]
	v_fma_f64 v[158:159], v[40:41], v[238:239], -v[158:159]
	v_add_f64_e64 v[40:41], v[160:161], -v[156:157]
	v_add_f64_e64 v[156:157], v[154:155], -v[192:193]
	v_fma_f64 v[190:191], v[0:1], v[238:239], v[194:195]
	v_mul_f64_e32 v[194:195], v[56:57], v[248:249]
	v_fma_f64 v[72:73], v[72:73], v[230:231], v[150:151]
	v_add_f64_e64 v[0:1], v[146:147], -v[142:143]
	v_add_f64_e64 v[141:142], v[152:153], -v[148:149]
	;; [unrolled: 1-line block ×4, first 2 shown]
	v_fma_f64 v[150:151], v[66:67], v[242:243], v[198:199]
	v_add_f64_e64 v[164:165], v[122:123], -v[170:171]
	v_add_f64_e64 v[170:171], v[110:111], -v[184:185]
	;; [unrolled: 1-line block ×3, first 2 shown]
	v_fma_f64 v[56:57], v[56:57], v[246:247], v[200:201]
	v_fma_f64 v[106:107], v[106:107], 2.0, -v[172:173]
	v_fma_f64 v[162:163], v[162:163], 2.0, -v[64:65]
	v_add_f64_e64 v[128:129], v[158:159], -v[128:129]
	v_fma_f64 v[154:155], v[154:155], 2.0, -v[156:157]
	v_add_f64_e64 v[96:97], v[190:191], -v[96:97]
	v_fma_f64 v[166:167], v[34:35], v[246:247], -v[194:195]
	v_add_f64_e64 v[72:73], v[176:177], -v[72:73]
	v_add_f64_e64 v[188:189], v[156:157], -v[135:136]
	v_mul_f64_e32 v[202:203], v[10:11], v[100:101]
	v_mul_f64_e32 v[100:101], v[50:51], v[100:101]
	v_fma_f64 v[34:35], v[112:113], 2.0, -v[148:149]
	v_fma_f64 v[180:181], v[180:181], 2.0, -v[80:81]
	v_add_f64_e64 v[150:151], v[144:145], -v[150:151]
	v_add_f64_e64 v[112:113], v[141:142], -v[164:165]
	v_mul_f64_e32 v[68:69], v[60:61], v[88:89]
	v_mul_f64_e32 v[88:89], v[38:39], v[88:89]
	;; [unrolled: 1-line block ×4, first 2 shown]
	v_fma_f64 v[110:111], v[110:111], 2.0, -v[170:171]
	v_add_f64_e64 v[192:193], v[172:173], -v[66:67]
	v_fma_f64 v[158:159], v[158:159], 2.0, -v[128:129]
	v_add_f64_e64 v[194:195], v[80:81], -v[96:97]
	v_fma_f64 v[96:97], v[190:191], 2.0, -v[96:97]
	v_fma_f64 v[184:185], v[50:51], v[98:99], -v[202:203]
	v_fma_f64 v[186:187], v[10:11], v[98:99], v[100:101]
	v_fma_f64 v[10:11], v[146:147], 2.0, -v[0:1]
	v_fma_f64 v[146:147], v[152:153], 2.0, -v[141:142]
	v_add_f64_e64 v[98:99], v[196:197], -v[70:71]
	v_add_f64_e64 v[152:153], v[182:183], -v[28:29]
	v_fma_f64 v[198:199], v[38:39], v[86:87], -v[68:69]
	v_fma_f64 v[60:61], v[60:61], v[86:87], v[88:89]
	v_fma_f64 v[86:87], v[94:95], v[102:103], v[139:140]
	v_fma_f64 v[88:89], v[114:115], v[102:103], -v[104:105]
	v_fma_f64 v[100:101], v[160:161], 2.0, -v[40:41]
	v_add_f64_e64 v[160:161], v[170:171], -v[62:63]
	v_fma_f64 v[102:103], v[168:169], 2.0, -v[135:136]
	v_add_f64_e32 v[135:136], v[72:73], v[137:138]
	v_fma_f64 v[94:95], v[122:123], 2.0, -v[164:165]
	v_fma_f64 v[50:51], v[144:145], 2.0, -v[150:151]
	v_add_f64_e32 v[128:129], v[150:151], v[128:129]
	v_fma_f64 v[141:142], v[141:142], 2.0, -v[112:113]
	v_fma_f64 v[70:71], v[176:177], 2.0, -v[72:73]
	v_add_f64_e64 v[38:39], v[154:155], -v[108:109]
	v_fma_f64 v[108:109], v[156:157], 2.0, -v[188:189]
	v_add_f64_e64 v[156:157], v[106:107], -v[162:163]
	;; [unrolled: 2-line block ×3, first 2 shown]
	v_add_f64_e64 v[10:11], v[146:147], -v[34:35]
	v_add_f64_e64 v[34:35], v[180:181], -v[158:159]
	v_fma_f64 v[158:159], v[80:81], 2.0, -v[194:195]
	v_add_f64_e64 v[80:81], v[166:167], -v[198:199]
	v_add_f64_e64 v[114:115], v[56:57], -v[60:61]
	;; [unrolled: 1-line block ×4, first 2 shown]
	v_fma_f64 v[68:69], v[196:197], 2.0, -v[98:99]
	v_add_f64_e32 v[104:105], v[98:99], v[148:149]
	v_fma_f64 v[139:140], v[182:183], 2.0, -v[152:153]
	v_add_f64_e64 v[143:144], v[110:111], -v[100:101]
	v_fma_f64 v[148:149], v[170:171], 2.0, -v[160:161]
	v_mul_f64_e32 v[60:61], v[8:9], v[84:85]
	v_mul_f64_e32 v[84:85], v[48:49], v[84:85]
	;; [unrolled: 1-line block ×4, first 2 shown]
	v_fma_f64 v[164:165], v[112:113], s[4:5], v[152:153]
	v_add_f64_e64 v[102:103], v[70:71], -v[102:103]
	v_fma_f64 v[168:169], v[72:73], 2.0, -v[135:136]
	v_fma_f64 v[72:73], v[188:189], s[4:5], v[160:161]
	v_fma_f64 v[176:177], v[106:107], 2.0, -v[156:157]
	v_fma_f64 v[182:183], v[194:195], s[4:5], v[192:193]
	v_fma_f64 v[145:146], v[146:147], 2.0, -v[10:11]
	v_fma_f64 v[106:107], v[180:181], 2.0, -v[34:35]
	s_wait_alu 0xfffe
	v_fma_f64 v[180:181], v[158:159], s[10:11], v[162:163]
	v_fma_f64 v[56:57], v[56:57], 2.0, -v[114:115]
	v_add_f64_e64 v[190:191], v[80:81], -v[86:87]
	v_add_f64_e32 v[196:197], v[114:115], v[88:89]
	v_add_f64_e64 v[100:101], v[68:69], -v[94:95]
	v_fma_f64 v[94:95], v[98:99], 2.0, -v[104:105]
	v_add_f64_e64 v[98:99], v[50:51], -v[96:97]
	v_fma_f64 v[96:97], v[150:151], 2.0, -v[128:129]
	v_fma_f64 v[150:151], v[124:125], 2.0, -v[137:138]
	v_fma_f64 v[170:171], v[141:142], s[10:11], v[139:140]
	v_fma_f64 v[172:173], v[110:111], 2.0, -v[143:144]
	v_fma_f64 v[110:111], v[154:155], 2.0, -v[38:39]
	v_fma_f64 v[154:155], v[108:109], s[10:11], v[148:149]
	v_fma_f64 v[124:125], v[48:49], v[82:83], -v[60:61]
	v_fma_f64 v[60:61], v[8:9], v[82:83], v[84:85]
	v_fma_f64 v[8:9], v[120:121], v[116:117], -v[122:123]
	v_fma_f64 v[14:15], v[14:15], v[116:117], v[118:119]
	v_fma_f64 v[122:123], v[166:167], 2.0, -v[80:81]
	v_fma_f64 v[84:85], v[184:185], 2.0, -v[88:89]
	;; [unrolled: 1-line block ×3, first 2 shown]
	v_fma_f64 v[164:165], v[104:105], s[10:11], v[164:165]
	v_add_f64_e64 v[184:185], v[143:144], -v[102:103]
	v_fma_f64 v[186:187], v[135:136], s[10:11], v[72:73]
	v_fma_f64 v[182:183], v[128:129], s[10:11], v[182:183]
	v_mul_f64_e32 v[48:49], s[4:5], v[112:113]
	v_mul_f64_e32 v[112:113], s[4:5], v[135:136]
	;; [unrolled: 1-line block ×4, first 2 shown]
	v_add_f64_e64 v[202:203], v[176:177], -v[106:107]
	v_mul_f64_e32 v[106:107], s[4:5], v[141:142]
	v_fma_f64 v[214:215], v[80:81], 2.0, -v[190:191]
	v_fma_f64 v[216:217], v[114:115], 2.0, -v[196:197]
	v_add_f64_e64 v[166:167], v[137:138], -v[100:101]
	v_mul_f64_e32 v[114:115], s[4:5], v[104:105]
	v_add_f64_e64 v[198:199], v[156:157], -v[98:99]
	v_fma_f64 v[180:181], v[96:97], s[10:11], v[180:181]
	v_add_f64_e64 v[145:146], v[150:151], -v[145:146]
	v_fma_f64 v[170:171], v[94:95], s[10:11], v[170:171]
	v_mul_f64_e32 v[80:81], s[4:5], v[190:191]
	v_add_f64_e64 v[200:201], v[172:173], -v[110:111]
	v_fma_f64 v[154:155], v[168:169], s[10:11], v[154:155]
	v_mul_f64_e32 v[110:111], s[4:5], v[128:129]
	v_mul_f64_e32 v[116:117], s[4:5], v[94:95]
	v_add_f64_e64 v[82:83], v[124:125], -v[8:9]
	v_add_f64_e64 v[86:87], v[60:61], -v[14:15]
	v_mul_f64_e32 v[14:15], s[4:5], v[188:189]
	v_mul_f64_e32 v[8:9], s[4:5], v[194:195]
	v_add_f64_e64 v[72:73], v[122:123], -v[84:85]
	v_add_f64_e64 v[88:89], v[56:57], -v[88:89]
	v_mul_f64_e32 v[84:85], s[4:5], v[196:197]
	v_mul_f64_e32 v[104:105], s[4:5], v[158:159]
	v_mul_f64_e32 v[120:121], s[4:5], v[96:97]
	v_fma_f64 v[141:142], v[143:144], 2.0, -v[184:185]
	v_fma_f64 v[143:144], v[160:161], 2.0, -v[186:187]
	s_wait_alu 0xf1ff
	v_cndmask_b32_e64 v128, 0, 0x50, s1
	v_mul_lo_u16 v129, 0x50, v131
	v_and_b32_e32 v131, 0xffff, v133
	s_delay_alu instid0(VALU_DEP_3) | instskip(NEXT) | instid1(VALU_DEP_3)
	v_or_b32_e32 v126, v128, v126
	v_or_b32_e32 v128, v129, v130
	s_delay_alu instid0(VALU_DEP_3) | instskip(SKIP_1) | instid1(VALU_DEP_4)
	v_mul_u32_u24_e32 v129, 0x50, v131
	v_fma_f64 v[158:159], v[176:177], 2.0, -v[202:203]
	v_lshlrev_b32_e32 v130, 3, v126
	s_delay_alu instid0(VALU_DEP_4) | instskip(NEXT) | instid1(VALU_DEP_4)
	v_and_b32_e32 v131, 0xff, v128
	v_or_b32_e32 v129, v129, v132
	v_mul_f64_e32 v[94:95], s[4:5], v[214:215]
	v_mul_f64_e32 v[96:97], s[4:5], v[216:217]
	v_fma_f64 v[135:136], v[137:138], 2.0, -v[166:167]
	v_fma_f64 v[137:138], v[152:153], 2.0, -v[164:165]
	;; [unrolled: 1-line block ×9, first 2 shown]
	v_add3_u32 v128, 0, v130, v212
	v_lshlrev_b32_e32 v130, 3, v131
	v_lshlrev_b32_e32 v129, 3, v129
	v_and_b32_e32 v126, 0xffff, v134
	s_delay_alu instid0(VALU_DEP_3) | instskip(NEXT) | instid1(VALU_DEP_3)
	v_add3_u32 v130, 0, v130, v212
	v_add3_u32 v129, 0, v129, v212
	ds_store_2addr_b64 v128, v[166:167], v[164:165] offset0:60 offset1:70
	ds_store_2addr_b64 v128, v[135:136], v[137:138] offset0:20 offset1:30
	;; [unrolled: 1-line block ×3, first 2 shown]
	ds_store_2addr_b64 v128, v[150:151], v[139:140] offset1:10
	ds_store_2addr_b64 v130, v[141:142], v[143:144] offset0:20 offset1:30
	ds_store_2addr_b64 v130, v[200:201], v[154:155] offset0:40 offset1:50
	;; [unrolled: 1-line block ×3, first 2 shown]
	ds_store_2addr_b64 v130, v[156:157], v[147:148] offset1:10
	ds_store_2addr_b64 v129, v[158:159], v[160:161] offset1:10
	ds_store_2addr_b64 v129, v[152:153], v[162:163] offset0:20 offset1:30
	ds_store_2addr_b64 v129, v[202:203], v[180:181] offset0:40 offset1:50
	;; [unrolled: 1-line block ×3, first 2 shown]
	s_and_saveexec_b32 s1, s0
	s_cbranch_execz .LBB0_19
; %bb.18:
	v_mul_f64_e32 v[131:132], v[58:59], v[76:77]
	v_fma_f64 v[124:125], v[124:125], 2.0, -v[82:83]
	v_fma_f64 v[122:123], v[122:123], 2.0, -v[72:73]
	v_mul_u32_u24_e32 v141, 0x50, v126
	s_delay_alu instid0(VALU_DEP_1) | instskip(NEXT) | instid1(VALU_DEP_1)
	v_or_b32_e32 v141, v141, v127
	v_lshlrev_b32_e32 v141, 3, v141
	s_delay_alu instid0(VALU_DEP_1) | instskip(SKIP_1) | instid1(VALU_DEP_1)
	v_add3_u32 v141, 0, v141, v212
	v_fma_f64 v[131:132], v[36:37], v[74:75], -v[131:132]
	v_add_f64_e64 v[131:132], v[32:33], -v[131:132]
	s_delay_alu instid0(VALU_DEP_1) | instskip(SKIP_1) | instid1(VALU_DEP_2)
	v_add_f64_e64 v[133:134], v[131:132], -v[86:87]
	v_fma_f64 v[32:33], v[32:33], 2.0, -v[131:132]
	v_fma_f64 v[131:132], v[131:132], 2.0, -v[133:134]
	s_delay_alu instid0(VALU_DEP_2) | instskip(SKIP_1) | instid1(VALU_DEP_3)
	v_add_f64_e64 v[124:125], v[32:33], -v[124:125]
	v_add_f64_e32 v[135:136], v[133:134], v[80:81]
	v_add_f64_e64 v[137:138], v[131:132], -v[94:95]
	s_delay_alu instid0(VALU_DEP_3) | instskip(NEXT) | instid1(VALU_DEP_3)
	v_fma_f64 v[32:33], v[32:33], 2.0, -v[124:125]
	v_add_f64_e64 v[135:136], v[135:136], -v[84:85]
	v_add_f64_e64 v[139:140], v[124:125], -v[88:89]
	s_delay_alu instid0(VALU_DEP_4) | instskip(NEXT) | instid1(VALU_DEP_4)
	v_add_f64_e64 v[137:138], v[137:138], -v[96:97]
	v_add_f64_e64 v[122:123], v[32:33], -v[122:123]
	s_delay_alu instid0(VALU_DEP_4) | instskip(NEXT) | instid1(VALU_DEP_4)
	v_fma_f64 v[133:134], v[133:134], 2.0, -v[135:136]
	v_fma_f64 v[124:125], v[124:125], 2.0, -v[139:140]
	s_delay_alu instid0(VALU_DEP_4) | instskip(NEXT) | instid1(VALU_DEP_4)
	v_fma_f64 v[131:132], v[131:132], 2.0, -v[137:138]
	v_fma_f64 v[32:33], v[32:33], 2.0, -v[122:123]
	ds_store_2addr_b64 v141, v[124:125], v[133:134] offset0:20 offset1:30
	ds_store_2addr_b64 v141, v[122:123], v[137:138] offset0:40 offset1:50
	ds_store_2addr_b64 v141, v[32:33], v[131:132] offset1:10
	ds_store_2addr_b64 v141, v[139:140], v[135:136] offset0:60 offset1:70
.LBB0_19:
	s_wait_alu 0xfffe
	s_or_b32 exec_lo, exec_lo, s1
	v_mul_f64_e32 v[18:19], v[42:43], v[18:19]
	v_mul_f64_e32 v[22:23], v[44:45], v[22:23]
	;; [unrolled: 1-line block ×3, first 2 shown]
	v_fma_f64 v[12:13], v[12:13], 2.0, -v[62:63]
	v_fma_f64 v[50:51], v[50:51], 2.0, -v[98:99]
	global_wb scope:SCOPE_SE
	s_wait_dscnt 0x0
	s_barrier_signal -1
	s_barrier_wait -1
	global_inv scope:SCOPE_SE
	v_add3_u32 v188, 0, v213, v212
	v_fma_f64 v[2:3], v[2:3], v[16:17], v[18:19]
	v_fma_f64 v[4:5], v[4:5], v[20:21], v[22:23]
	;; [unrolled: 1-line block ×3, first 2 shown]
	v_fma_f64 v[16:17], v[30:31], 2.0, -v[28:29]
	v_fma_f64 v[24:25], v[78:79], 2.0, -v[66:67]
	;; [unrolled: 1-line block ×3, first 2 shown]
	v_add_f64_e64 v[2:3], v[52:53], -v[2:3]
	v_add_f64_e64 v[4:5], v[92:93], -v[4:5]
	;; [unrolled: 1-line block ×3, first 2 shown]
	s_delay_alu instid0(VALU_DEP_3) | instskip(SKIP_1) | instid1(VALU_DEP_4)
	v_fma_f64 v[18:19], v[52:53], 2.0, -v[2:3]
	v_add_f64_e32 v[0:1], v[2:3], v[0:1]
	v_fma_f64 v[20:21], v[92:93], 2.0, -v[4:5]
	v_add_f64_e32 v[22:23], v[4:5], v[40:41]
	;; [unrolled: 2-line block ×3, first 2 shown]
	v_fma_f64 v[40:41], v[70:71], 2.0, -v[102:103]
	v_add_f64_e64 v[16:17], v[18:19], -v[16:17]
	v_fma_f64 v[2:3], v[2:3], 2.0, -v[0:1]
	v_add_f64_e64 v[12:13], v[20:21], -v[12:13]
	;; [unrolled: 2-line block ×3, first 2 shown]
	v_fma_f64 v[6:7], v[6:7], 2.0, -v[28:29]
	v_add_f64_e32 v[32:33], v[0:1], v[114:115]
	v_add_f64_e32 v[46:47], v[22:23], v[112:113]
	;; [unrolled: 1-line block ×3, first 2 shown]
	v_fma_f64 v[18:19], v[18:19], 2.0, -v[16:17]
	v_add_f64_e64 v[42:43], v[2:3], -v[116:117]
	v_fma_f64 v[20:21], v[20:21], 2.0, -v[12:13]
	v_add_f64_e64 v[44:45], v[4:5], -v[118:119]
	;; [unrolled: 2-line block ×3, first 2 shown]
	v_add_f64_e32 v[64:65], v[16:17], v[10:11]
	v_add_f64_e32 v[66:67], v[48:49], v[32:33]
	;; [unrolled: 1-line block ×6, first 2 shown]
	v_add_nc_u32_e32 v38, 0x800, v211
	v_add_f64_e64 v[70:71], v[18:19], -v[30:31]
	v_add_f64_e32 v[78:79], v[106:107], v[42:43]
	v_add_f64_e64 v[90:91], v[20:21], -v[40:41]
	v_add_f64_e32 v[92:93], v[108:109], v[44:45]
	;; [unrolled: 2-line block ×3, first 2 shown]
	v_fma_f64 v[106:107], v[16:17], 2.0, -v[64:65]
	v_fma_f64 v[108:109], v[0:1], 2.0, -v[66:67]
	;; [unrolled: 1-line block ×12, first 2 shown]
	ds_load_2addr_b64 v[0:3], v211 offset0:64 offset1:80
	ds_load_2addr_b64 v[4:7], v211 offset0:160 offset1:176
	;; [unrolled: 1-line block ×8, first 2 shown]
	ds_load_2addr_b64 v[28:31], v38 offset1:16
	ds_load_2addr_b64 v[24:27], v38 offset0:160 offset1:176
	ds_load_2addr_b64 v[20:23], v38 offset0:96 offset1:112
	ds_load_b64 v[141:142], v208
	ds_load_b64 v[135:136], v209
	;; [unrolled: 1-line block ×4, first 2 shown]
	ds_load_2addr_b64 v[42:45], v38 offset0:32 offset1:48
	ds_load_2addr_b64 v[38:41], v38 offset0:192 offset1:208
	global_wb scope:SCOPE_SE
	s_wait_dscnt 0x0
	s_barrier_signal -1
	s_barrier_wait -1
	global_inv scope:SCOPE_SE
	ds_store_2addr_b64 v128, v[64:65], v[66:67] offset0:60 offset1:70
	ds_store_2addr_b64 v128, v[106:107], v[108:109] offset0:20 offset1:30
	;; [unrolled: 1-line block ×3, first 2 shown]
	ds_store_2addr_b64 v128, v[112:113], v[114:115] offset1:10
	ds_store_2addr_b64 v130, v[116:117], v[118:119] offset1:10
	ds_store_2addr_b64 v130, v[110:111], v[120:121] offset0:20 offset1:30
	ds_store_2addr_b64 v130, v[90:91], v[92:93] offset0:40 offset1:50
	ds_store_2addr_b64 v130, v[68:69], v[98:99] offset0:60 offset1:70
	ds_store_2addr_b64 v129, v[124:125], v[131:132] offset1:10
	ds_store_2addr_b64 v129, v[122:123], v[133:134] offset0:20 offset1:30
	ds_store_2addr_b64 v129, v[102:103], v[104:105] offset0:40 offset1:50
	;; [unrolled: 1-line block ×3, first 2 shown]
	s_and_saveexec_b32 s1, s0
	s_cbranch_execz .LBB0_21
; %bb.20:
	v_mul_f64_e32 v[36:37], v[36:37], v[76:77]
	v_fma_f64 v[56:57], v[56:57], 2.0, -v[88:89]
	v_mul_u32_u24_e32 v68, 0x50, v126
	s_delay_alu instid0(VALU_DEP_1) | instskip(NEXT) | instid1(VALU_DEP_1)
	v_or_b32_e32 v68, v68, v127
	v_lshlrev_b32_e32 v68, 3, v68
	s_delay_alu instid0(VALU_DEP_1) | instskip(SKIP_2) | instid1(VALU_DEP_2)
	v_add3_u32 v68, 0, v68, v212
	v_fma_f64 v[36:37], v[58:59], v[74:75], v[36:37]
	v_fma_f64 v[58:59], v[60:61], 2.0, -v[86:87]
	v_add_f64_e64 v[36:37], v[54:55], -v[36:37]
	s_delay_alu instid0(VALU_DEP_1) | instskip(SKIP_1) | instid1(VALU_DEP_2)
	v_fma_f64 v[54:55], v[54:55], 2.0, -v[36:37]
	v_add_f64_e32 v[60:61], v[36:37], v[82:83]
	v_add_f64_e64 v[58:59], v[54:55], -v[58:59]
	s_delay_alu instid0(VALU_DEP_2) | instskip(SKIP_1) | instid1(VALU_DEP_3)
	v_fma_f64 v[36:37], v[36:37], 2.0, -v[60:61]
	v_add_f64_e32 v[62:63], v[60:61], v[84:85]
	v_fma_f64 v[54:55], v[54:55], 2.0, -v[58:59]
	s_delay_alu instid0(VALU_DEP_3) | instskip(SKIP_1) | instid1(VALU_DEP_4)
	v_add_f64_e64 v[64:65], v[36:37], -v[96:97]
	v_add_f64_e32 v[66:67], v[58:59], v[72:73]
	v_add_f64_e32 v[62:63], v[80:81], v[62:63]
	s_delay_alu instid0(VALU_DEP_4) | instskip(NEXT) | instid1(VALU_DEP_4)
	v_add_f64_e64 v[56:57], v[54:55], -v[56:57]
	v_add_f64_e32 v[64:65], v[94:95], v[64:65]
	s_delay_alu instid0(VALU_DEP_4) | instskip(NEXT) | instid1(VALU_DEP_4)
	v_fma_f64 v[58:59], v[58:59], 2.0, -v[66:67]
	v_fma_f64 v[60:61], v[60:61], 2.0, -v[62:63]
	s_delay_alu instid0(VALU_DEP_4) | instskip(NEXT) | instid1(VALU_DEP_4)
	v_fma_f64 v[54:55], v[54:55], 2.0, -v[56:57]
	v_fma_f64 v[36:37], v[36:37], 2.0, -v[64:65]
	ds_store_2addr_b64 v68, v[58:59], v[60:61] offset0:20 offset1:30
	ds_store_2addr_b64 v68, v[56:57], v[64:65] offset0:40 offset1:50
	ds_store_2addr_b64 v68, v[54:55], v[36:37] offset1:10
	ds_store_2addr_b64 v68, v[66:67], v[62:63] offset0:60 offset1:70
.LBB0_21:
	s_wait_alu 0xfffe
	s_or_b32 exec_lo, exec_lo, s1
	global_wb scope:SCOPE_SE
	s_wait_dscnt 0x0
	s_barrier_signal -1
	s_barrier_wait -1
	global_inv scope:SCOPE_SE
	s_and_saveexec_b32 s0, vcc_lo
	s_cbranch_execz .LBB0_23
; %bb.22:
	v_or_b32_e32 v36, 64, v204
	v_mul_u32_u24_e32 v37, 5, v204
	v_mul_hi_u32 v183, 0xcccccccd, v204
	v_mul_lo_u32 v194, s3, v174
	v_mul_lo_u32 v195, s2, v175
	v_mul_u32_u24_e32 v36, 5, v36
	v_dual_mov_b32 v37, 0 :: v_dual_lshlrev_b32 v58, 4, v37
	v_mad_co_u64_u32 v[190:191], null, s2, v174, 0
	s_delay_alu instid0(VALU_DEP_3)
	v_lshlrev_b32_e32 v56, 4, v36
	v_mul_i32_i24_e32 v36, 5, v205
	v_lshrrev_b32_e32 v183, 6, v183
	v_add_nc_u32_e32 v181, 32, v204
	s_clause 0x4
	global_load_b128 v[150:153], v58, s[8:9] offset:1152
	global_load_b128 v[146:149], v56, s[8:9] offset:1136
	;; [unrolled: 1-line block ×5, first 2 shown]
	v_add_nc_u32_e32 v182, 48, v204
	v_lshlrev_b64_e32 v[54:55], 4, v[36:37]
	v_mul_i32_i24_e32 v36, 5, v207
	v_mul_lo_u32 v183, 0x50, v183
	v_add3_u32 v191, v191, v195, v194
	v_mul_hi_u32 v225, 0xcccccccd, v181
	v_mul_hi_u32 v226, 0xcccccccd, v182
	v_add_co_u32 v54, vcc_lo, s8, v54
	s_wait_alu 0xfffd
	v_add_co_ci_u32_e32 v55, vcc_lo, s9, v55, vcc_lo
	v_sub_nc_u32_e32 v183, v204, v183
	v_lshlrev_b64_e32 v[190:191], 4, v[190:191]
	s_clause 0x1
	global_load_b128 v[154:157], v[54:55], off offset:1152
	global_load_b128 v[130:133], v56, s[8:9] offset:1184
	s_clause 0x2
	scratch_store_b64 off, v[137:138], off
	scratch_store_b64 off, v[139:140], off offset:8
	scratch_store_b64 off, v[141:142], off offset:24
	s_clause 0x3
	global_load_b128 v[138:141], v[54:55], off offset:1184
	global_load_b128 v[118:121], v56, s[8:9] offset:1120
	global_load_b128 v[114:117], v[54:55], off offset:1120
	global_load_b128 v[122:125], v58, s[8:9] offset:1136
	v_lshlrev_b64_e32 v[56:57], 4, v[36:37]
	v_mul_i32_i24_e32 v36, 5, v206
	s_clause 0x2
	global_load_b128 v[110:113], v58, s[8:9] offset:1168
	global_load_b128 v[106:109], v58, s[8:9] offset:1120
	global_load_b128 v[70:73], v[54:55], off offset:1136
	v_add_nc_u32_e32 v251, 0xf0, v183
	v_lshrrev_b32_e32 v195, 6, v225
	v_lshlrev_b64_e32 v[36:37], 4, v[36:37]
	v_lshrrev_b32_e32 v248, 6, v226
	v_lshlrev_b64_e32 v[196:197], 4, v[178:179]
	v_mad_co_u64_u32 v[241:242], null, s16, v251, 0
	v_add_nc_u32_e32 v180, 16, v204
	v_add_co_u32 v36, vcc_lo, s8, v36
	s_wait_alu 0xfffd
	v_add_co_ci_u32_e32 v37, vcc_lo, s9, v37, vcc_lo
	s_clause 0x1
	global_load_b128 v[82:85], v[54:55], off offset:1168
	global_load_b128 v[98:101], v[36:37], off offset:1152
	v_add_co_u32 v54, vcc_lo, s8, v56
	s_wait_alu 0xfffd
	v_add_co_ci_u32_e32 v55, vcc_lo, s9, v57, vcc_lo
	s_clause 0x8
	global_load_b128 v[102:105], v[36:37], off offset:1184
	global_load_b128 v[90:93], v[54:55], off offset:1152
	;; [unrolled: 1-line block ×9, first 2 shown]
	ds_load_2addr_b64 v[170:173], v211 offset0:224 offset1:240
	v_mul_hi_u32 v198, 0xcccccccd, v180
	v_mul_lo_u32 v238, 0x50, v195
	v_mul_lo_u32 v239, 0x50, v248
	scratch_store_b64 off, v[135:136], off offset:16 ; 8-byte Folded Spill
	ds_load_2addr_b64 v[54:57], v211 offset0:64 offset1:80
	ds_load_2addr_b64 v[142:145], v211 offset0:128 offset1:144
	;; [unrolled: 1-line block ×5, first 2 shown]
	ds_load_b64 v[188:189], v188
	ds_load_b64 v[178:179], v210
	;; [unrolled: 1-line block ×4, first 2 shown]
	v_lshrrev_b32_e32 v194, 6, v198
	v_add_co_u32 v198, vcc_lo, s6, v190
	s_wait_alu 0xfffd
	v_add_co_ci_u32_e32 v231, vcc_lo, s7, v191, vcc_lo
	s_delay_alu instid0(VALU_DEP_3)
	v_mul_lo_u32 v237, 0x50, v194
	v_add_nc_u32_e32 v250, 0xa0, v183
	s_mov_b32 s0, 0xe8584caa
	s_mov_b32 s1, 0x3febb67a
	;; [unrolled: 1-line block ×3, first 2 shown]
	s_wait_alu 0xfffe
	s_mov_b32 s2, s0
	s_wait_loadcnt_dscnt 0x1809
	v_mul_f64_e32 v[190:191], v[152:153], v[172:173]
	v_mul_f64_e32 v[225:226], v[150:151], v[172:173]
	v_add_co_u32 v173, vcc_lo, v198, v196
	s_wait_alu 0xfffd
	v_add_co_ci_u32_e32 v198, vcc_lo, v231, v197, vcc_lo
	v_mad_co_u64_u32 v[231:232], null, s16, v183, 0
	s_wait_loadcnt 0x17
	v_mul_f64_e32 v[227:228], v[148:149], v[170:171]
	v_mul_f64_e32 v[229:230], v[146:147], v[170:171]
	v_add_nc_u32_e32 v199, 0x800, v211
	v_sub_nc_u32_e32 v170, v180, v237
	v_sub_nc_u32_e32 v171, v181, v238
	;; [unrolled: 1-line block ×3, first 2 shown]
	v_mad_co_u64_u32 v[239:240], null, s16, v250, 0
	s_delay_alu instid0(VALU_DEP_3) | instskip(NEXT) | instid1(VALU_DEP_3)
	v_mad_co_u64_u32 v[243:244], null, 0x1e0, v194, v[170:171]
	v_mad_co_u64_u32 v[246:247], null, 0x1e0, v195, v[171:172]
	;; [unrolled: 1-line block ×3, first 2 shown]
	s_delay_alu instid0(VALU_DEP_2)
	v_add_nc_u32_e32 v186, 0xf0, v246
	v_fma_f64 v[194:195], v[48:49], v[150:151], -v[190:191]
	v_fma_f64 v[196:197], v[48:49], v[152:153], v[225:226]
	v_mov_b32_e32 v48, v232
	ds_load_2addr_b64 v[200:203], v199 offset0:128 offset1:144
	ds_load_2addr_b64 v[205:208], v199 offset0:32 offset1:48
	;; [unrolled: 1-line block ×3, first 2 shown]
	ds_load_2addr_b64 v[213:216], v199 offset1:16
	ds_load_2addr_b64 v[217:220], v199 offset0:64 offset1:80
	ds_load_2addr_b64 v[221:224], v199 offset0:160 offset1:176
	v_mad_co_u64_u32 v[225:226], null, s16, v246, 0
	v_add_nc_u32_e32 v252, 0x140, v183
	v_fma_f64 v[171:172], v[46:47], v[146:147], -v[227:228]
	v_fma_f64 v[190:191], v[46:47], v[148:149], v[229:230]
	v_mad_co_u64_u32 v[48:49], null, s17, v183, v[48:49]
	v_dual_mov_b32 v146, v240 :: v_dual_mov_b32 v147, v242
	s_delay_alu instid0(VALU_DEP_2)
	v_mov_b32_e32 v232, v48
	s_wait_loadcnt_dscnt 0x1404
	v_mul_f64_e32 v[150:151], v[160:161], v[207:208]
	v_mul_f64_e32 v[46:47], v[158:159], v[207:208]
	s_wait_loadcnt 0x13
	v_mul_f64_e32 v[148:149], v[154:155], v[205:206]
	v_mul_f64_e32 v[235:236], v[164:165], v[200:201]
	;; [unrolled: 1-line block ×5, first 2 shown]
	v_fma_f64 v[158:159], v[44:45], v[158:159], -v[150:151]
	v_fma_f64 v[160:161], v[44:45], v[160:161], v[46:47]
	v_lshlrev_b64_e32 v[46:47], 4, v[231:232]
	v_fma_f64 v[162:163], v[50:51], v[162:163], -v[235:236]
	v_fma_f64 v[164:165], v[50:51], v[164:165], v[200:201]
	v_mul_f64_e32 v[50:51], v[156:157], v[205:206]
	v_fma_f64 v[168:169], v[52:53], v[168:169], v[202:203]
	v_mad_co_u64_u32 v[202:203], null, s16, v243, 0
	v_add_nc_u32_e32 v185, 0xa0, v246
	v_fma_f64 v[166:167], v[52:53], v[166:167], -v[233:234]
	v_mad_co_u64_u32 v[205:206], null, s17, v250, v[146:147]
	v_add_nc_u32_e32 v181, 0xa0, v243
	v_mad_co_u64_u32 v[146:147], null, s17, v251, v[147:148]
	v_mov_b32_e32 v44, v203
	v_fma_f64 v[156:157], v[42:43], v[156:157], v[148:149]
	v_add_co_u32 v150, vcc_lo, v173, v46
	v_mov_b32_e32 v240, v205
	s_delay_alu instid0(VALU_DEP_4)
	v_mad_co_u64_u32 v[44:45], null, s17, v243, v[44:45]
	v_mov_b32_e32 v45, v226
	v_mad_co_u64_u32 v[244:245], null, s16, v252, 0
	v_add_nc_u32_e32 v249, 0x50, v183
	v_mad_co_u64_u32 v[229:230], null, s16, v181, 0
	v_add_nc_u32_e32 v180, 0x50, v243
	v_dual_mov_b32 v203, v44 :: v_dual_add_nc_u32 v184, 0x50, v246
	v_mov_b32_e32 v52, v245
	v_mad_co_u64_u32 v[237:238], null, s16, v249, 0
	v_add_nc_u32_e32 v200, 0x140, v246
	s_wait_alu 0xfffd
	v_add_co_ci_u32_e32 v151, vcc_lo, v198, v47, vcc_lo
	s_delay_alu instid0(VALU_DEP_3) | instskip(SKIP_3) | instid1(VALU_DEP_4)
	v_dual_mov_b32 v242, v146 :: v_dual_mov_b32 v49, v238
	v_fma_f64 v[154:155], v[42:43], v[154:155], -v[50:51]
	v_mov_b32_e32 v43, v230
	v_mad_co_u64_u32 v[227:228], null, s16, v180, 0
	v_mad_co_u64_u32 v[152:153], null, s17, v249, v[49:50]
	v_add_nc_u32_e32 v253, 0x190, v183
	v_add_nc_u32_e32 v183, 0x140, v243
	v_mad_co_u64_u32 v[49:50], null, s17, v246, v[45:46]
	v_mov_b32_e32 v42, v228
	v_lshlrev_b64_e32 v[146:147], 4, v[241:242]
	v_mov_b32_e32 v238, v152
	v_mad_co_u64_u32 v[247:248], null, s16, v253, 0
	v_mad_co_u64_u32 v[235:236], null, s16, v183, 0
	v_add_nc_u32_e32 v182, 0xf0, v243
	v_mad_co_u64_u32 v[152:153], null, s17, v181, v[43:44]
	s_delay_alu instid0(VALU_DEP_4) | instskip(NEXT) | instid1(VALU_DEP_4)
	v_dual_mov_b32 v226, v49 :: v_dual_mov_b32 v53, v248
	v_mov_b32_e32 v45, v236
	s_delay_alu instid0(VALU_DEP_4) | instskip(NEXT) | instid1(VALU_DEP_3)
	v_mad_co_u64_u32 v[233:234], null, s16, v182, 0
	v_mad_co_u64_u32 v[206:207], null, s17, v252, v[52:53]
	;; [unrolled: 1-line block ×4, first 2 shown]
	v_add_nc_u32_e32 v208, 0x190, v243
	v_mad_co_u64_u32 v[251:252], null, s16, v184, 0
	s_delay_alu instid0(VALU_DEP_4)
	v_dual_mov_b32 v248, v52 :: v_dual_add_nc_u32 v201, 0x190, v246
	v_mad_co_u64_u32 v[52:53], null, s17, v180, v[42:43]
	v_mad_co_u64_u32 v[180:181], null, s17, v183, v[45:46]
	v_mov_b32_e32 v45, v254
	v_mad_co_u64_u32 v[249:250], null, s16, v208, 0
	v_mov_b32_e32 v48, v234
	v_dual_mov_b32 v42, v252 :: v_dual_mov_b32 v245, v206
	v_mov_b32_e32 v230, v152
	v_mov_b32_e32 v236, v180
	s_delay_alu instid0(VALU_DEP_4)
	v_mad_co_u64_u32 v[231:232], null, s17, v182, v[48:49]
	v_mov_b32_e32 v50, v250
	v_mad_co_u64_u32 v[181:182], null, s17, v184, v[42:43]
	v_lshlrev_b64_e32 v[42:43], 4, v[237:238]
	s_wait_loadcnt_dscnt 0x1203
	v_mul_f64_e32 v[237:238], v[132:133], v[211:212]
	v_mul_f64_e32 v[211:212], v[130:131], v[211:212]
	v_mad_co_u64_u32 v[254:255], null, s17, v208, v[50:51]
	v_lshlrev_b64_e32 v[50:51], 4, v[239:240]
	s_wait_loadcnt 0x11
	v_mul_f64_e32 v[239:240], v[140:141], v[209:210]
	v_mul_f64_e32 v[209:210], v[138:139], v[209:210]
	v_lshlrev_b64_e32 v[148:149], 4, v[244:245]
	v_mov_b32_e32 v234, v231
	v_mov_b32_e32 v252, v181
	v_lshlrev_b64_e32 v[180:181], 4, v[202:203]
	v_lshlrev_b64_e32 v[202:203], 4, v[225:226]
	;; [unrolled: 1-line block ×3, first 2 shown]
	s_wait_loadcnt 0x10
	v_mul_f64_e32 v[229:230], v[120:121], v[144:145]
	v_mul_f64_e32 v[144:145], v[118:119], v[144:145]
	v_lshlrev_b64_e32 v[231:232], 4, v[235:236]
	s_wait_loadcnt 0xf
	v_mul_f64_e32 v[235:236], v[116:117], v[142:143]
	v_mul_f64_e32 v[142:143], v[114:115], v[142:143]
	s_wait_loadcnt 0xe
	v_mul_f64_e32 v[243:244], v[174:175], v[124:125]
	v_mul_f64_e32 v[245:246], v[4:5], v[124:125]
	v_add_co_u32 v46, vcc_lo, v173, v42
	s_wait_alu 0xfffd
	v_add_co_ci_u32_e32 v47, vcc_lo, v198, v43, vcc_lo
	v_add_co_u32 v48, vcc_lo, v173, v50
	s_wait_alu 0xfffd
	v_add_co_ci_u32_e32 v49, vcc_lo, v198, v51, vcc_lo
	v_lshlrev_b64_e32 v[182:183], 4, v[247:248]
	v_add_co_u32 v50, vcc_lo, v173, v146
	s_wait_alu 0xfffd
	v_add_co_ci_u32_e32 v51, vcc_lo, v198, v147, vcc_lo
	v_add_co_u32 v146, vcc_lo, v173, v148
	s_wait_alu 0xfffd
	v_add_co_ci_u32_e32 v147, vcc_lo, v198, v149, vcc_lo
	;; [unrolled: 3-line block ×3, first 2 shown]
	v_mad_co_u64_u32 v[182:183], null, s17, v185, v[45:46]
	ds_load_2addr_b64 v[205:208], v199 offset0:96 offset1:112
	v_mov_b32_e32 v228, v52
	v_mov_b32_e32 v250, v254
	v_add_co_u32 v124, vcc_lo, v173, v180
	s_wait_alu 0xfffd
	v_add_co_ci_u32_e32 v125, vcc_lo, v198, v181, vcc_lo
	v_mov_b32_e32 v254, v182
	v_lshlrev_b64_e32 v[182:183], 4, v[227:228]
	v_fma_f64 v[237:238], v[40:41], v[130:131], -v[237:238]
	v_fma_f64 v[211:212], v[40:41], v[132:133], v[211:212]
	v_add_co_u32 v40, vcc_lo, v173, v202
	s_wait_alu 0xfffd
	v_add_co_ci_u32_e32 v41, vcc_lo, v198, v203, vcc_lo
	v_lshlrev_b64_e32 v[227:228], 4, v[233:234]
	v_fma_f64 v[138:139], v[38:39], v[138:139], -v[239:240]
	v_fma_f64 v[140:141], v[38:39], v[140:141], v[209:210]
	v_add_co_u32 v38, vcc_lo, v173, v182
	s_wait_alu 0xfffd
	v_add_co_ci_u32_e32 v39, vcc_lo, v198, v183, vcc_lo
	v_add_co_u32 v130, vcc_lo, v173, v225
	s_wait_alu 0xfffd
	v_add_co_ci_u32_e32 v131, vcc_lo, v198, v226, vcc_lo
	v_add_co_u32 v132, vcc_lo, v173, v227
	s_wait_loadcnt_dscnt 0xd02
	v_mul_f64_e32 v[180:181], v[112:113], v[217:218]
	v_mul_f64_e32 v[202:203], v[110:111], v[217:218]
	s_wait_alu 0xfffd
	v_add_co_ci_u32_e32 v133, vcc_lo, v198, v228, vcc_lo
	s_wait_loadcnt 0xb
	v_mul_f64_e32 v[209:210], v[72:73], v[136:137]
	v_fma_f64 v[118:119], v[34:35], v[118:119], -v[229:230]
	v_fma_f64 v[34:35], v[34:35], v[120:121], v[144:145]
	v_mul_f64_e32 v[120:121], v[70:71], v[136:137]
	s_wait_loadcnt_dscnt 0xa00
	v_mul_f64_e32 v[136:137], v[84:85], v[207:208]
	v_fma_f64 v[116:117], v[32:33], v[116:117], v[142:143]
	v_mul_f64_e32 v[142:143], v[82:83], v[207:208]
	s_wait_loadcnt 0x9
	v_mul_f64_e32 v[144:145], v[100:101], v[213:214]
	v_mul_f64_e32 v[207:208], v[98:99], v[213:214]
	s_wait_loadcnt 0x8
	v_mul_f64_e32 v[213:214], v[102:103], v[221:222]
	v_fma_f64 v[217:218], v[4:5], v[122:123], -v[243:244]
	v_fma_f64 v[122:123], v[122:123], v[174:175], v[245:246]
	v_mul_f64_e32 v[174:175], v[104:105], v[221:222]
	s_wait_loadcnt 0x7
	v_mul_f64_e32 v[221:222], v[92:93], v[215:216]
	v_mul_f64_e32 v[215:216], v[90:91], v[215:216]
	s_wait_loadcnt 0x5
	v_mul_f64_e32 v[227:228], v[96:97], v[223:224]
	v_mul_f64_e32 v[223:224], v[94:95], v[223:224]
	;; [unrolled: 1-line block ×4, first 2 shown]
	v_fma_f64 v[114:115], v[32:33], v[114:115], -v[235:236]
	v_mul_f64_e32 v[225:226], v[76:77], v[134:135]
	v_mul_f64_e32 v[134:135], v[74:75], v[134:135]
	s_wait_loadcnt 0x3
	v_mul_f64_e32 v[235:236], v[80:81], v[128:129]
	v_mul_f64_e32 v[128:129], v[78:79], v[128:129]
	v_mad_co_u64_u32 v[42:43], null, s16, v186, 0
	v_mad_co_u64_u32 v[44:45], null, s16, v200, 0
	v_mul_f64_e32 v[229:230], v[88:89], v[205:206]
	v_mul_f64_e32 v[205:206], v[86:87], v[205:206]
	s_wait_loadcnt 0x0
	v_mul_f64_e32 v[239:240], v[60:61], v[126:127]
	v_mul_f64_e32 v[126:127], v[58:59], v[126:127]
	v_lshlrev_b64_e32 v[233:234], 4, v[249:250]
	v_lshlrev_b64_e32 v[241:242], 4, v[251:252]
	v_fma_f64 v[110:111], v[12:13], v[110:111], -v[180:181]
	v_fma_f64 v[112:113], v[12:13], v[112:113], v[202:203]
	v_mul_f64_e32 v[202:203], v[64:65], v[219:220]
	v_mul_f64_e32 v[219:220], v[62:63], v[219:220]
	v_fma_f64 v[70:71], v[18:19], v[70:71], -v[209:210]
	v_add_co_u32 v12, vcc_lo, v173, v231
	v_fma_f64 v[18:19], v[18:19], v[72:73], v[120:121]
	v_fma_f64 v[72:73], v[22:23], v[82:83], -v[136:137]
	s_wait_alu 0xfffd
	v_add_co_ci_u32_e32 v13, vcc_lo, v198, v232, vcc_lo
	v_fma_f64 v[22:23], v[22:23], v[84:85], v[142:143]
	scratch_load_b64 v[231:232], off, off offset:24 th:TH_LOAD_LU ; 8-byte Folded Reload
	v_mad_co_u64_u32 v[152:153], null, s17, v186, v[43:44]
	scratch_load_b64 v[186:187], off, off offset:8 th:TH_LOAD_LU ; 8-byte Folded Reload
	v_mul_f64_e32 v[180:181], v[68:69], v[176:177]
	v_fma_f64 v[82:83], v[30:31], v[90:91], -v[221:222]
	v_fma_f64 v[30:31], v[30:31], v[92:93], v[215:216]
	v_fma_f64 v[84:85], v[26:27], v[94:95], -v[227:228]
	v_fma_f64 v[26:27], v[26:27], v[96:97], v[223:224]
	v_mul_f64_e32 v[176:177], v[66:67], v[176:177]
	v_fma_f64 v[56:57], v[106:107], v[56:57], v[108:109]
	v_fma_f64 v[106:107], v[2:3], v[106:107], -v[182:183]
	v_fma_f64 v[74:75], v[16:17], v[74:75], -v[225:226]
	v_fma_f64 v[16:17], v[16:17], v[76:77], v[134:135]
	v_fma_f64 v[76:77], v[10:11], v[78:79], -v[235:236]
	v_fma_f64 v[10:11], v[10:11], v[80:81], v[128:129]
	v_fma_f64 v[100:101], v[28:29], v[100:101], v[207:208]
	;; [unrolled: 1-line block ×3, first 2 shown]
	v_fma_f64 v[28:29], v[28:29], v[98:99], -v[144:145]
	v_fma_f64 v[24:25], v[24:25], v[102:103], -v[174:175]
	v_add_f64_e32 v[78:79], v[196:197], v[168:169]
	v_fma_f64 v[86:87], v[20:21], v[86:87], -v[229:230]
	v_fma_f64 v[20:21], v[20:21], v[88:89], v[205:206]
	v_fma_f64 v[58:59], v[8:9], v[58:59], -v[239:240]
	v_fma_f64 v[8:9], v[8:9], v[60:61], v[126:127]
	v_add_f64_e32 v[90:91], v[122:123], v[192:193]
	v_add_f64_e32 v[142:143], v[160:161], v[211:212]
	v_add_f64_e64 v[96:97], v[122:123], -v[112:113]
	v_fma_f64 v[62:63], v[14:15], v[62:63], -v[202:203]
	v_fma_f64 v[14:15], v[14:15], v[64:65], v[219:220]
	v_add_f64_e32 v[64:65], v[122:123], v[112:113]
	v_add_f64_e32 v[122:123], v[158:159], v[237:238]
	v_add_f64_e64 v[80:81], v[196:197], -v[168:169]
	v_add_f64_e64 v[88:89], v[194:195], -v[166:167]
	v_add_f64_e32 v[120:121], v[190:191], v[164:165]
	v_add_f64_e64 v[134:135], v[158:159], -v[237:238]
	v_add_f64_e32 v[144:145], v[190:191], v[54:55]
	v_add_f64_e32 v[158:159], v[118:119], v[158:159]
	v_add_f64_e64 v[60:61], v[217:218], -v[110:111]
	v_add_f64_e32 v[94:95], v[217:218], v[110:111]
	v_add_f64_e64 v[202:203], v[156:157], -v[140:141]
	v_add_f64_e64 v[205:206], v[154:155], -v[138:139]
	v_fma_f64 v[66:67], v[6:7], v[66:67], -v[180:181]
	v_add_f64_e32 v[207:208], v[156:157], v[140:141]
	v_add_f64_e32 v[209:210], v[18:19], v[188:189]
	;; [unrolled: 1-line block ×4, first 2 shown]
	v_add_f64_e64 v[219:220], v[30:31], -v[26:27]
	v_fma_f64 v[6:7], v[6:7], v[68:69], v[176:177]
	v_add_f64_e32 v[68:69], v[194:195], v[166:167]
	v_add_f64_e32 v[92:93], v[56:57], v[196:197]
	;; [unrolled: 1-line block ×3, first 2 shown]
	v_add_f64_e64 v[176:177], v[190:191], -v[164:165]
	v_add_f64_e32 v[30:31], v[10:11], v[30:31]
	v_add_f64_e64 v[190:191], v[70:71], -v[72:73]
	v_add_f64_e32 v[128:129], v[100:101], v[104:105]
	v_add_f64_e32 v[194:195], v[18:19], v[22:23]
	;; [unrolled: 1-line block ×3, first 2 shown]
	v_fma_f64 v[56:57], v[78:79], -0.5, v[56:57]
	v_add_f64_e32 v[196:197], v[154:155], v[138:139]
	v_add_f64_e32 v[156:157], v[116:117], v[156:157]
	;; [unrolled: 1-line block ×3, first 2 shown]
	v_add_f64_e64 v[215:216], v[18:19], -v[22:23]
	v_add_f64_e64 v[221:222], v[82:83], -v[84:85]
	v_add_f64_e32 v[223:224], v[16:17], v[178:179]
	v_add_f64_e32 v[78:79], v[74:75], v[86:87]
	;; [unrolled: 1-line block ×3, first 2 shown]
	v_add_f64_e64 v[100:101], v[100:101], -v[104:105]
	v_add_f64_e64 v[108:109], v[171:172], -v[162:163]
	;; [unrolled: 1-line block ×3, first 2 shown]
	v_add_f64_e32 v[160:161], v[34:35], v[160:161]
	v_add_f64_e32 v[174:175], v[171:172], v[162:163]
	;; [unrolled: 1-line block ×3, first 2 shown]
	v_fma_f64 v[34:35], v[142:143], -0.5, v[34:35]
	v_fma_f64 v[64:65], v[64:65], -0.5, v[192:193]
	;; [unrolled: 1-line block ×3, first 2 shown]
	v_add_f64_e32 v[120:121], v[158:159], v[237:238]
	v_add_f64_e32 v[90:91], v[112:113], v[90:91]
	v_lshlrev_b64_e32 v[4:5], 4, v[253:254]
	v_add_co_u32 v32, vcc_lo, v173, v233
	v_add_f64_e32 v[229:230], v[66:67], v[62:63]
	v_fma_f64 v[116:117], v[207:208], -0.5, v[116:117]
	v_add_f64_e32 v[142:143], v[22:23], v[209:210]
	v_fma_f64 v[10:11], v[182:183], -0.5, v[10:11]
	s_clause 0x1
	scratch_load_b64 v[182:183], off, off offset:16 th:TH_LOAD_LU
	scratch_load_b64 v[184:185], off, off th:TH_LOAD_LU
	v_fma_f64 v[68:69], v[68:69], -0.5, v[106:107]
	v_add_f64_e64 v[106:107], v[16:17], -v[20:21]
	v_add_f64_e32 v[227:228], v[6:7], v[36:37]
	v_add_f64_e32 v[92:93], v[92:93], v[168:169]
	;; [unrolled: 1-line block ×4, first 2 shown]
	v_fma_f64 v[8:9], v[128:129], -0.5, v[8:9]
	s_wait_alu 0xfffd
	v_add_co_ci_u32_e32 v33, vcc_lo, v198, v234, vcc_lo
	v_fma_f64 v[128:129], v[136:137], -0.5, v[58:59]
	v_add_f64_e32 v[136:137], v[6:7], v[14:15]
	v_add_co_u32 v2, vcc_lo, v173, v241
	s_wait_alu 0xfffd
	v_add_co_ci_u32_e32 v3, vcc_lo, v198, v242, vcc_lo
	v_mad_co_u64_u32 v[52:53], null, s16, v201, 0
	v_add_f64_e32 v[104:105], v[225:226], v[104:105]
	v_mov_b32_e32 v43, v152
	v_add_f64_e32 v[112:113], v[160:161], v[211:212]
	v_fma_f64 v[0:1], v[174:175], -0.5, v[0:1]
	v_fma_f64 v[168:169], v[60:61], s[0:1], v[64:65]
	v_fma_f64 v[158:159], v[80:81], s[0:1], v[68:69]
	s_wait_alu 0xfffe
	v_fma_f64 v[68:69], v[80:81], s[2:3], v[68:69]
	v_add_f64_e32 v[80:81], v[156:157], v[140:141]
	v_fma_f64 v[26:27], v[136:137], -0.5, v[36:37]
	v_fma_f64 v[192:193], v[176:177], s[2:3], v[0:1]
	v_fma_f64 v[0:1], v[176:177], s[0:1], v[0:1]
	v_mul_f64_e32 v[174:175], -0.5, v[68:69]
	s_wait_loadcnt 0x3
	v_add_f64_e32 v[98:99], v[231:232], v[217:218]
	v_add_f64_e32 v[217:218], v[16:17], v[20:21]
	v_fma_f64 v[94:95], v[94:95], -0.5, v[231:232]
	s_wait_loadcnt 0x2
	v_add_f64_e32 v[18:19], v[186:187], v[70:71]
	v_add_f64_e32 v[70:71], v[114:115], v[154:155]
	v_add_f64_e64 v[153:154], v[74:75], -v[86:87]
	v_fma_f64 v[155:156], v[100:101], s[0:1], v[128:129]
	v_fma_f64 v[100:101], v[100:101], s[2:3], v[128:129]
	v_fma_f64 v[114:115], v[196:197], -0.5, v[114:115]
	v_fma_f64 v[140:141], v[213:214], -0.5, v[186:187]
	v_fma_f64 v[186:187], v[108:109], s[0:1], v[54:55]
	v_add_f64_e32 v[128:129], v[20:21], v[223:224]
	v_add_f64_e32 v[98:99], v[98:99], v[110:111]
	;; [unrolled: 1-line block ×3, first 2 shown]
	v_fma_f64 v[144:145], v[88:89], s[0:1], v[56:57]
	v_fma_f64 v[56:57], v[88:89], s[2:3], v[56:57]
	v_add_f64_e32 v[70:71], v[70:71], v[138:139]
	v_fma_f64 v[138:139], v[217:218], -0.5, v[178:179]
	v_fma_f64 v[178:179], v[96:97], s[2:3], v[94:95]
	v_fma_f64 v[94:95], v[96:97], s[0:1], v[94:95]
	v_add_f64_e32 v[72:73], v[18:19], v[72:73]
	v_add_f64_e64 v[20:21], v[110:111], -v[112:113]
	s_wait_loadcnt 0x1
	v_fma_f64 v[36:37], v[229:230], -0.5, v[182:183]
	s_wait_loadcnt 0x0
	v_add_f64_e32 v[16:17], v[184:185], v[74:75]
	v_add_f64_e32 v[74:75], v[76:77], v[82:83]
	v_add_f64_e64 v[82:83], v[28:29], -v[24:25]
	v_add_f64_e32 v[28:29], v[58:59], v[28:29]
	v_add_f64_e64 v[58:59], v[66:67], -v[62:63]
	v_fma_f64 v[76:77], v[180:181], -0.5, v[76:77]
	v_add_f64_e64 v[180:181], v[6:7], -v[14:15]
	v_add_f64_e32 v[6:7], v[182:183], v[66:67]
	v_fma_f64 v[66:67], v[122:123], -0.5, v[118:119]
	v_add_f64_e32 v[118:119], v[171:172], v[162:163]
	v_fma_f64 v[162:163], v[221:222], s[2:3], v[10:11]
	v_fma_f64 v[10:11], v[221:222], s[0:1], v[10:11]
	;; [unrolled: 1-line block ×3, first 2 shown]
	v_mul_f64_e32 v[64:65], s[2:3], v[158:159]
	v_mul_f64_e32 v[182:183], s[0:1], v[56:57]
	v_mul_f64_e32 v[60:61], -0.5, v[144:145]
	v_fma_f64 v[122:123], v[194:195], -0.5, v[188:189]
	v_fma_f64 v[78:79], v[78:79], -0.5, v[184:185]
	v_mul_f64_e32 v[184:185], -0.5, v[100:101]
	v_fma_f64 v[188:189], v[108:109], s[2:3], v[54:55]
	v_fma_f64 v[144:145], v[144:145], s[0:1], v[174:175]
	;; [unrolled: 1-line block ×3, first 2 shown]
	v_add_f64_e32 v[164:165], v[16:17], v[86:87]
	v_add_f64_e32 v[166:167], v[74:75], v[84:85]
	v_fma_f64 v[88:89], v[82:83], s[0:1], v[8:9]
	v_fma_f64 v[82:83], v[82:83], s[2:3], v[8:9]
	;; [unrolled: 1-line block ×8, first 2 shown]
	v_add_f64_e64 v[8:9], v[90:91], -v[92:93]
	v_add_f64_e32 v[16:17], v[90:91], v[92:93]
	v_mul_f64_e32 v[90:91], s[2:3], v[155:156]
	v_add_f64_e32 v[86:87], v[14:15], v[227:228]
	v_add_f64_e32 v[62:63], v[6:7], v[62:63]
	v_fma_f64 v[126:127], v[205:206], s[0:1], v[116:117]
	v_fma_f64 v[134:135], v[202:203], s[0:1], v[114:115]
	;; [unrolled: 1-line block ×3, first 2 shown]
	v_add_f64_e64 v[6:7], v[98:99], -v[102:103]
	v_add_f64_e32 v[14:15], v[98:99], v[102:103]
	v_mul_f64_e32 v[98:99], s[0:1], v[162:163]
	v_mul_f64_e32 v[196:197], -0.5, v[10:11]
	v_fma_f64 v[116:117], v[205:206], s[2:3], v[116:117]
	v_fma_f64 v[209:210], v[56:57], 0.5, v[64:65]
	v_fma_f64 v[157:158], v[158:159], 0.5, v[182:183]
	v_fma_f64 v[207:208], v[68:69], s[2:3], v[60:61]
	v_add_f64_e32 v[136:137], v[28:29], v[24:25]
	v_fma_f64 v[182:183], v[58:59], s[2:3], v[26:27]
	v_fma_f64 v[205:206], v[190:191], s[0:1], v[122:123]
	;; [unrolled: 1-line block ×6, first 2 shown]
	v_add_f64_e32 v[24:25], v[110:111], v[112:113]
	v_fma_f64 v[217:218], v[106:107], s[2:3], v[78:79]
	v_fma_f64 v[213:214], v[106:107], s[0:1], v[78:79]
	v_add_f64_e64 v[18:19], v[118:119], -v[120:121]
	v_add_f64_e32 v[22:23], v[118:119], v[120:121]
	v_add_f64_e64 v[28:29], v[142:143], -v[80:81]
	v_add_f64_e64 v[26:27], v[72:73], -v[70:71]
	v_mul_f64_e32 v[96:97], -0.5, v[88:89]
	v_mul_f64_e32 v[92:93], s[0:1], v[82:83]
	v_mul_f64_e32 v[102:103], -0.5, v[74:75]
	v_mul_f64_e32 v[54:55], s[2:3], v[160:161]
	v_mul_f64_e32 v[194:195], s[0:1], v[34:35]
	v_mul_f64_e32 v[202:203], -0.5, v[76:77]
	v_mul_f64_e32 v[108:109], s[2:3], v[84:85]
	v_mul_f64_e32 v[176:177], -0.5, v[66:67]
	v_add_f64_e32 v[56:57], v[128:129], v[30:31]
	v_fma_f64 v[82:83], v[82:83], 0.5, v[90:91]
	v_add_f64_e32 v[64:65], v[86:87], v[104:105]
	v_add_f64_e64 v[60:61], v[86:87], -v[104:105]
	v_mul_f64_e32 v[110:111], -0.5, v[126:127]
	v_mul_f64_e32 v[112:113], s[2:3], v[134:135]
	v_mul_f64_e32 v[118:119], -0.5, v[114:115]
	v_add_f64_e64 v[104:105], v[128:129], -v[30:31]
	global_store_b128 v[150:151], v[14:17], off
	v_fma_f64 v[215:216], v[160:161], 0.5, v[98:99]
	v_add_nc_u32_e32 v30, 64, v204
	v_mul_f64_e32 v[120:121], s[0:1], v[116:117]
	v_add_nc_u32_e32 v31, 0x140, v170
	v_add_f64_e32 v[78:79], v[94:95], v[157:158]
	v_add_f64_e64 v[68:69], v[168:169], -v[207:208]
	v_add_f64_e64 v[58:59], v[62:63], -v[136:137]
	v_add_f64_e32 v[62:63], v[62:63], v[136:137]
	v_fma_f64 v[96:97], v[100:101], s[2:3], v[96:97]
	v_fma_f64 v[100:101], v[180:181], s[0:1], v[36:37]
	v_fma_f64 v[155:156], v[155:156], 0.5, v[92:93]
	v_fma_f64 v[180:181], v[88:89], s[0:1], v[184:185]
	v_fma_f64 v[184:185], v[153:154], s[2:3], v[138:139]
	;; [unrolled: 1-line block ×5, first 2 shown]
	v_fma_f64 v[176:177], v[84:85], 0.5, v[194:195]
	v_fma_f64 v[194:195], v[76:77], s[2:3], v[196:197]
	v_fma_f64 v[162:163], v[162:163], 0.5, v[54:55]
	v_add_f64_e32 v[36:37], v[142:143], v[80:81]
	v_add_f64_e32 v[80:81], v[171:172], v[209:210]
	;; [unrolled: 1-line block ×4, first 2 shown]
	v_fma_f64 v[142:143], v[34:35], 0.5, v[108:109]
	v_add_f64_e32 v[34:35], v[72:73], v[70:71]
	v_add_f64_e64 v[72:73], v[171:172], -v[209:210]
	v_add_f64_e64 v[70:71], v[94:95], -v[157:158]
	v_fma_f64 v[138:139], v[66:67], s[2:3], v[102:103]
	v_add_f64_e64 v[66:67], v[178:179], -v[144:145]
	v_add_f64_e32 v[92:93], v[182:183], v[82:83]
	v_fma_f64 v[196:197], v[114:115], s[2:3], v[110:111]
	v_fma_f64 v[202:203], v[116:117], 0.5, v[112:113]
	v_add_f64_e32 v[54:55], v[164:165], v[166:167]
	v_add_f64_e32 v[98:99], v[213:214], v[215:216]
	v_add_f64_e64 v[102:103], v[164:165], -v[166:167]
	v_fma_f64 v[221:222], v[134:135], 0.5, v[120:121]
	v_fma_f64 v[219:220], v[126:127], s[0:1], v[118:119]
	v_add_f64_e64 v[157:158], v[213:214], -v[215:216]
	v_add_f64_e32 v[88:89], v[140:141], v[96:97]
	v_add_f64_e64 v[84:85], v[140:141], -v[96:97]
	v_add_f64_e32 v[90:91], v[100:101], v[155:156]
	v_add_f64_e32 v[86:87], v[211:212], v[180:181]
	v_add_f64_e64 v[96:97], v[182:183], -v[82:83]
	v_add_f64_e64 v[94:95], v[100:101], -v[155:156]
	v_add_f64_e32 v[110:111], v[217:218], v[10:11]
	v_add_f64_e64 v[82:83], v[211:212], -v[180:181]
	v_add_f64_e64 v[106:107], v[0:1], -v[176:177]
	v_add_f64_e32 v[112:113], v[153:154], v[194:195]
	v_add_f64_e32 v[100:101], v[184:185], v[162:163]
	;; [unrolled: 1-line block ×3, first 2 shown]
	s_clause 0xc
	global_store_b128 v[46:47], v[78:81], off
	global_store_b128 v[48:49], v[74:77], off
	;; [unrolled: 1-line block ×13, first 2 shown]
	v_add_co_u32 v0, vcc_lo, v173, v4
	v_mad_co_u64_u32 v[3:4], null, s16, v170, 0
	s_wait_alu 0xfffd
	v_add_co_ci_u32_e32 v1, vcc_lo, v198, v5, vcc_lo
	v_mov_b32_e32 v2, v45
	v_add_f64_e64 v[14:15], v[192:193], -v[159:160]
	v_add_f64_e32 v[114:115], v[192:193], v[159:160]
	v_add_f64_e64 v[155:156], v[153:154], -v[194:195]
	v_add_f64_e64 v[159:160], v[184:185], -v[162:163]
	;; [unrolled: 1-line block ×3, first 2 shown]
	global_store_b128 v[0:1], v[110:113], off
	v_mad_co_u64_u32 v[1:2], null, s17, v200, v[2:3]
	v_mov_b32_e32 v0, v53
	v_lshlrev_b64_e32 v[5:6], 4, v[42:43]
	v_add_nc_u32_e32 v9, 0x50, v170
	v_add_f64_e64 v[108:109], v[188:189], -v[142:143]
	v_add_f64_e32 v[120:121], v[188:189], v[142:143]
	v_add_f64_e32 v[144:145], v[122:123], v[202:203]
	v_mad_co_u64_u32 v[7:8], null, s17, v201, v[0:1]
	v_dual_mov_b32 v0, v4 :: v_dual_mov_b32 v45, v1
	v_add_co_u32 v4, vcc_lo, v173, v5
	s_wait_alu 0xfffd
	v_add_co_ci_u32_e32 v5, vcc_lo, v198, v6, vcc_lo
	s_delay_alu instid0(VALU_DEP_3)
	v_mad_co_u64_u32 v[0:1], null, s17, v170, v[0:1]
	v_mov_b32_e32 v53, v7
	v_lshlrev_b64_e32 v[1:2], 4, v[44:45]
	global_store_b128 v[4:5], v[102:105], off
	v_mad_co_u64_u32 v[5:6], null, s16, v9, 0
	v_lshlrev_b64_e32 v[7:8], 4, v[52:53]
	v_mov_b32_e32 v4, v0
	v_add_co_u32 v0, vcc_lo, v173, v1
	v_add_f64_e32 v[142:143], v[174:175], v[221:222]
	s_wait_alu 0xfffd
	v_add_co_ci_u32_e32 v1, vcc_lo, v198, v2, vcc_lo
	v_lshlrev_b64_e32 v[2:3], 4, v[3:4]
	v_add_co_u32 v7, vcc_lo, v173, v7
	s_wait_alu 0xfffd
	v_add_co_ci_u32_e32 v8, vcc_lo, v198, v8, vcc_lo
	v_mov_b32_e32 v4, v6
	s_delay_alu instid0(VALU_DEP_4) | instskip(SKIP_4) | instid1(VALU_DEP_3)
	v_add_co_u32 v2, vcc_lo, v173, v2
	v_add_nc_u32_e32 v12, 0xa0, v170
	s_wait_alu 0xfffd
	v_add_co_ci_u32_e32 v3, vcc_lo, v198, v3, vcc_lo
	v_mad_co_u64_u32 v[9:10], null, s17, v9, v[4:5]
	v_mad_co_u64_u32 v[10:11], null, s16, v12, 0
	s_clause 0x2
	global_store_b128 v[0:1], v[157:160], off
	global_store_b128 v[7:8], v[153:156], off
	;; [unrolled: 1-line block ×3, first 2 shown]
	v_add_nc_u32_e32 v8, 0xf0, v170
	v_mul_hi_u32 v7, 0xcccccccd, v30
	v_mov_b32_e32 v6, v9
	v_add_f64_e64 v[16:17], v[186:187], -v[138:139]
	v_mov_b32_e32 v2, v11
	v_mad_co_u64_u32 v[3:4], null, s16, v8, 0
	v_add_f64_e32 v[116:117], v[186:187], v[138:139]
	v_add_f64_e32 v[140:141], v[205:206], v[196:197]
	v_add_f64_e32 v[138:139], v[190:191], v[219:220]
	v_lshlrev_b64_e32 v[0:1], 4, v[5:6]
	v_lshrrev_b32_e32 v32, 6, v7
	v_add_nc_u32_e32 v33, 0x190, v170
	v_mad_co_u64_u32 v[5:6], null, s17, v12, v[2:3]
	v_mov_b32_e32 v2, v4
	v_add_co_u32 v0, vcc_lo, v173, v0
	v_mad_co_u64_u32 v[6:7], null, s16, v31, 0
	s_delay_alu instid0(VALU_DEP_3)
	v_mad_co_u64_u32 v[8:9], null, s17, v8, v[2:3]
	v_mul_lo_u32 v9, 0x50, v32
	s_wait_alu 0xfffd
	v_add_co_ci_u32_e32 v1, vcc_lo, v198, v1, vcc_lo
	v_mov_b32_e32 v11, v5
	v_mad_co_u64_u32 v[12:13], null, s16, v33, 0
	v_add_f64_e64 v[128:129], v[205:206], -v[196:197]
	v_add_f64_e64 v[136:137], v[122:123], -v[202:203]
	v_add_f64_e64 v[126:127], v[190:191], -v[219:220]
	v_add_f64_e64 v[134:135], v[174:175], -v[221:222]
	global_store_b128 v[0:1], v[142:145], off
	v_lshlrev_b64_e32 v[1:2], 4, v[10:11]
	v_mov_b32_e32 v0, v7
	v_sub_nc_u32_e32 v5, v30, v9
	v_mov_b32_e32 v4, v8
	s_delay_alu instid0(VALU_DEP_3) | instskip(SKIP_1) | instid1(VALU_DEP_4)
	v_mad_co_u64_u32 v[7:8], null, s17, v31, v[0:1]
	v_mov_b32_e32 v0, v13
	v_mad_co_u64_u32 v[8:9], null, 0x1e0, v32, v[5:6]
	v_add_co_u32 v1, vcc_lo, v173, v1
	v_lshlrev_b64_e32 v[3:4], 4, v[3:4]
	s_wait_alu 0xfffd
	v_add_co_ci_u32_e32 v2, vcc_lo, v198, v2, vcc_lo
	s_delay_alu instid0(VALU_DEP_3) | instskip(SKIP_1) | instid1(VALU_DEP_4)
	v_mad_co_u64_u32 v[9:10], null, s17, v33, v[0:1]
	v_mad_co_u64_u32 v[10:11], null, s16, v8, 0
	v_add_co_u32 v3, vcc_lo, v173, v3
	s_wait_alu 0xfffd
	v_add_co_ci_u32_e32 v4, vcc_lo, v198, v4, vcc_lo
	s_delay_alu instid0(VALU_DEP_4)
	v_mov_b32_e32 v13, v9
	global_store_b128 v[1:2], v[138:141], off
	v_lshlrev_b64_e32 v[1:2], 4, v[6:7]
	v_mov_b32_e32 v0, v11
	global_store_b128 v[3:4], v[26:29], off
	v_lshlrev_b64_e32 v[3:4], 4, v[12:13]
	v_add_nc_u32_e32 v9, 0x50, v8
	v_add_nc_u32_e32 v13, 0xf0, v8
	v_mad_co_u64_u32 v[5:6], null, s17, v8, v[0:1]
	v_add_co_u32 v0, vcc_lo, v173, v1
	s_wait_alu 0xfffd
	v_add_co_ci_u32_e32 v1, vcc_lo, v198, v2, vcc_lo
	v_add_co_u32 v2, vcc_lo, v173, v3
	s_wait_alu 0xfffd
	v_add_co_ci_u32_e32 v3, vcc_lo, v198, v4, vcc_lo
	v_dual_mov_b32 v11, v5 :: v_dual_add_nc_u32 v12, 0xa0, v8
	v_mad_co_u64_u32 v[4:5], null, s16, v9, 0
	v_mad_co_u64_u32 v[6:7], null, s16, v13, 0
	s_clause 0x1
	global_store_b128 v[0:1], v[134:137], off
	global_store_b128 v[2:3], v[126:129], off
	v_mad_co_u64_u32 v[2:3], null, s16, v12, 0
	v_lshlrev_b64_e32 v[0:1], 4, v[10:11]
	v_add_nc_u32_e32 v26, 0x140, v8
	v_mad_co_u64_u32 v[9:10], null, s17, v9, v[5:6]
	v_add_nc_u32_e32 v27, 0x190, v8
	v_mad_co_u64_u32 v[10:11], null, s17, v12, v[3:4]
	s_delay_alu instid0(VALU_DEP_4)
	v_mad_co_u64_u32 v[11:12], null, s16, v26, 0
	v_add_co_u32 v0, vcc_lo, v173, v0
	v_mov_b32_e32 v3, v7
	s_wait_alu 0xfffd
	v_add_co_ci_u32_e32 v1, vcc_lo, v198, v1, vcc_lo
	v_mov_b32_e32 v5, v9
	s_delay_alu instid0(VALU_DEP_3)
	v_mad_co_u64_u32 v[7:8], null, s17, v13, v[3:4]
	v_mad_co_u64_u32 v[8:9], null, s16, v27, 0
	global_store_b128 v[0:1], v[22:25], off
	v_dual_mov_b32 v0, v12 :: v_dual_mov_b32 v3, v10
	v_lshlrev_b64_e32 v[4:5], 4, v[4:5]
	v_lshlrev_b64_e32 v[6:7], 4, v[6:7]
	s_delay_alu instid0(VALU_DEP_3)
	v_mad_co_u64_u32 v[0:1], null, s17, v26, v[0:1]
	v_mov_b32_e32 v1, v9
	v_lshlrev_b64_e32 v[2:3], 4, v[2:3]
	v_add_co_u32 v4, vcc_lo, v173, v4
	s_wait_alu 0xfffd
	v_add_co_ci_u32_e32 v5, vcc_lo, v198, v5, vcc_lo
	v_mov_b32_e32 v12, v0
	s_delay_alu instid0(VALU_DEP_4)
	v_mad_co_u64_u32 v[9:10], null, s17, v27, v[1:2]
	v_add_co_u32 v0, vcc_lo, v173, v2
	s_wait_alu 0xfffd
	v_add_co_ci_u32_e32 v1, vcc_lo, v198, v3, vcc_lo
	v_lshlrev_b64_e32 v[2:3], 4, v[11:12]
	v_add_co_u32 v6, vcc_lo, v173, v6
	v_lshlrev_b64_e32 v[8:9], 4, v[8:9]
	s_wait_alu 0xfffd
	v_add_co_ci_u32_e32 v7, vcc_lo, v198, v7, vcc_lo
	s_delay_alu instid0(VALU_DEP_4)
	v_add_co_u32 v2, vcc_lo, v173, v2
	s_wait_alu 0xfffd
	v_add_co_ci_u32_e32 v3, vcc_lo, v198, v3, vcc_lo
	v_add_co_u32 v8, vcc_lo, v173, v8
	s_wait_alu 0xfffd
	v_add_co_ci_u32_e32 v9, vcc_lo, v198, v9, vcc_lo
	s_clause 0x4
	global_store_b128 v[4:5], v[118:121], off
	global_store_b128 v[0:1], v[114:117], off
	;; [unrolled: 1-line block ×5, first 2 shown]
.LBB0_23:
	s_endpgm
	.section	.rodata,"a",@progbits
	.p2align	6, 0x0
	.amdhsa_kernel fft_rtc_fwd_len480_factors_10_8_6_wgs_64_tpt_16_halfLds_dp_op_CI_CI_sbrr_dirReg
		.amdhsa_group_segment_fixed_size 0
		.amdhsa_private_segment_fixed_size 36
		.amdhsa_kernarg_size 104
		.amdhsa_user_sgpr_count 2
		.amdhsa_user_sgpr_dispatch_ptr 0
		.amdhsa_user_sgpr_queue_ptr 0
		.amdhsa_user_sgpr_kernarg_segment_ptr 1
		.amdhsa_user_sgpr_dispatch_id 0
		.amdhsa_user_sgpr_private_segment_size 0
		.amdhsa_wavefront_size32 1
		.amdhsa_uses_dynamic_stack 0
		.amdhsa_enable_private_segment 1
		.amdhsa_system_sgpr_workgroup_id_x 1
		.amdhsa_system_sgpr_workgroup_id_y 0
		.amdhsa_system_sgpr_workgroup_id_z 0
		.amdhsa_system_sgpr_workgroup_info 0
		.amdhsa_system_vgpr_workitem_id 0
		.amdhsa_next_free_vgpr 256
		.amdhsa_next_free_sgpr 43
		.amdhsa_reserve_vcc 1
		.amdhsa_float_round_mode_32 0
		.amdhsa_float_round_mode_16_64 0
		.amdhsa_float_denorm_mode_32 3
		.amdhsa_float_denorm_mode_16_64 3
		.amdhsa_fp16_overflow 0
		.amdhsa_workgroup_processor_mode 1
		.amdhsa_memory_ordered 1
		.amdhsa_forward_progress 0
		.amdhsa_round_robin_scheduling 0
		.amdhsa_exception_fp_ieee_invalid_op 0
		.amdhsa_exception_fp_denorm_src 0
		.amdhsa_exception_fp_ieee_div_zero 0
		.amdhsa_exception_fp_ieee_overflow 0
		.amdhsa_exception_fp_ieee_underflow 0
		.amdhsa_exception_fp_ieee_inexact 0
		.amdhsa_exception_int_div_zero 0
	.end_amdhsa_kernel
	.text
.Lfunc_end0:
	.size	fft_rtc_fwd_len480_factors_10_8_6_wgs_64_tpt_16_halfLds_dp_op_CI_CI_sbrr_dirReg, .Lfunc_end0-fft_rtc_fwd_len480_factors_10_8_6_wgs_64_tpt_16_halfLds_dp_op_CI_CI_sbrr_dirReg
                                        ; -- End function
	.section	.AMDGPU.csdata,"",@progbits
; Kernel info:
; codeLenInByte = 16500
; NumSgprs: 45
; NumVgprs: 256
; ScratchSize: 36
; MemoryBound: 1
; FloatMode: 240
; IeeeMode: 1
; LDSByteSize: 0 bytes/workgroup (compile time only)
; SGPRBlocks: 5
; VGPRBlocks: 31
; NumSGPRsForWavesPerEU: 45
; NumVGPRsForWavesPerEU: 256
; Occupancy: 5
; WaveLimiterHint : 1
; COMPUTE_PGM_RSRC2:SCRATCH_EN: 1
; COMPUTE_PGM_RSRC2:USER_SGPR: 2
; COMPUTE_PGM_RSRC2:TRAP_HANDLER: 0
; COMPUTE_PGM_RSRC2:TGID_X_EN: 1
; COMPUTE_PGM_RSRC2:TGID_Y_EN: 0
; COMPUTE_PGM_RSRC2:TGID_Z_EN: 0
; COMPUTE_PGM_RSRC2:TIDIG_COMP_CNT: 0
	.text
	.p2alignl 7, 3214868480
	.fill 96, 4, 3214868480
	.type	__hip_cuid_a2b063ad559293a0,@object ; @__hip_cuid_a2b063ad559293a0
	.section	.bss,"aw",@nobits
	.globl	__hip_cuid_a2b063ad559293a0
__hip_cuid_a2b063ad559293a0:
	.byte	0                               ; 0x0
	.size	__hip_cuid_a2b063ad559293a0, 1

	.ident	"AMD clang version 19.0.0git (https://github.com/RadeonOpenCompute/llvm-project roc-6.4.0 25133 c7fe45cf4b819c5991fe208aaa96edf142730f1d)"
	.section	".note.GNU-stack","",@progbits
	.addrsig
	.addrsig_sym __hip_cuid_a2b063ad559293a0
	.amdgpu_metadata
---
amdhsa.kernels:
  - .args:
      - .actual_access:  read_only
        .address_space:  global
        .offset:         0
        .size:           8
        .value_kind:     global_buffer
      - .offset:         8
        .size:           8
        .value_kind:     by_value
      - .actual_access:  read_only
        .address_space:  global
        .offset:         16
        .size:           8
        .value_kind:     global_buffer
      - .actual_access:  read_only
        .address_space:  global
        .offset:         24
        .size:           8
        .value_kind:     global_buffer
      - .actual_access:  read_only
        .address_space:  global
        .offset:         32
        .size:           8
        .value_kind:     global_buffer
      - .offset:         40
        .size:           8
        .value_kind:     by_value
      - .actual_access:  read_only
        .address_space:  global
        .offset:         48
        .size:           8
        .value_kind:     global_buffer
      - .actual_access:  read_only
        .address_space:  global
        .offset:         56
        .size:           8
        .value_kind:     global_buffer
      - .offset:         64
        .size:           4
        .value_kind:     by_value
      - .actual_access:  read_only
        .address_space:  global
        .offset:         72
        .size:           8
        .value_kind:     global_buffer
      - .actual_access:  read_only
        .address_space:  global
        .offset:         80
        .size:           8
        .value_kind:     global_buffer
      - .actual_access:  read_only
        .address_space:  global
        .offset:         88
        .size:           8
        .value_kind:     global_buffer
      - .actual_access:  write_only
        .address_space:  global
        .offset:         96
        .size:           8
        .value_kind:     global_buffer
    .group_segment_fixed_size: 0
    .kernarg_segment_align: 8
    .kernarg_segment_size: 104
    .language:       OpenCL C
    .language_version:
      - 2
      - 0
    .max_flat_workgroup_size: 64
    .name:           fft_rtc_fwd_len480_factors_10_8_6_wgs_64_tpt_16_halfLds_dp_op_CI_CI_sbrr_dirReg
    .private_segment_fixed_size: 36
    .sgpr_count:     45
    .sgpr_spill_count: 0
    .symbol:         fft_rtc_fwd_len480_factors_10_8_6_wgs_64_tpt_16_halfLds_dp_op_CI_CI_sbrr_dirReg.kd
    .uniform_work_group_size: 1
    .uses_dynamic_stack: false
    .vgpr_count:     256
    .vgpr_spill_count: 8
    .wavefront_size: 32
    .workgroup_processor_mode: 1
amdhsa.target:   amdgcn-amd-amdhsa--gfx1201
amdhsa.version:
  - 1
  - 2
...

	.end_amdgpu_metadata
